;; amdgpu-corpus repo=ROCm/rocFFT kind=compiled arch=gfx1201 opt=O3
	.text
	.amdgcn_target "amdgcn-amd-amdhsa--gfx1201"
	.amdhsa_code_object_version 6
	.protected	bluestein_single_back_len320_dim1_dp_op_CI_CI ; -- Begin function bluestein_single_back_len320_dim1_dp_op_CI_CI
	.globl	bluestein_single_back_len320_dim1_dp_op_CI_CI
	.p2align	8
	.type	bluestein_single_back_len320_dim1_dp_op_CI_CI,@function
bluestein_single_back_len320_dim1_dp_op_CI_CI: ; @bluestein_single_back_len320_dim1_dp_op_CI_CI
; %bb.0:
	s_load_b128 s[16:19], s[0:1], 0x28
	v_dual_mov_b32 v123, v0 :: v_dual_mov_b32 v94, 0
	s_mov_b32 s2, exec_lo
	s_delay_alu instid0(VALU_DEP_1) | instskip(NEXT) | instid1(VALU_DEP_1)
	v_lshrrev_b32_e32 v0, 4, v123
	v_lshl_or_b32 v93, ttmp9, 2, v0
	s_wait_kmcnt 0x0
	s_delay_alu instid0(VALU_DEP_1)
	v_cmpx_gt_u64_e64 s[16:17], v[93:94]
	s_cbranch_execz .LBB0_2
; %bb.1:
	s_clause 0x1
	s_load_b128 s[4:7], s[0:1], 0x18
	s_load_b128 s[8:11], s[0:1], 0x0
	v_and_b32_e32 v8, 15, v123
	v_mul_u32_u24_e32 v241, 0x140, v0
	s_mov_b32 s16, 0x134454ff
	s_mov_b32 s17, 0x3fee6f0e
	;; [unrolled: 1-line block ×3, first 2 shown]
	v_mov_b32_e32 v174, v8
	s_mov_b32 s21, 0x3fe9e377
	s_mov_b32 s23, 0xbfd3c6ef
	;; [unrolled: 1-line block ×4, first 2 shown]
	s_load_b64 s[0:1], s[0:1], 0x38
	v_lshlrev_b32_e32 v255, 4, v174
	s_delay_alu instid0(VALU_DEP_1)
	v_lshl_or_b32 v253, v241, 4, v255
	s_wait_kmcnt 0x0
	s_load_b128 s[12:15], s[4:5], 0x0
	s_wait_kmcnt 0x0
	v_mad_co_u64_u32 v[1:2], null, s14, v93, 0
	v_mad_co_u64_u32 v[3:4], null, s12, v8, 0
	s_lshl_b64 s[2:3], s[12:13], 9
	s_mul_i32 s4, s13, 0xffffef00
	s_delay_alu instid0(SALU_CYCLE_1) | instskip(NEXT) | instid1(VALU_DEP_1)
	s_sub_co_i32 s4, s4, s12
	v_mad_co_u64_u32 v[5:6], null, s15, v93, v[2:3]
	s_mov_b32 s14, 0x372fe950
	s_mov_b32 s15, 0x3fd3c6ef
	s_wait_alu 0xfffe
	s_mov_b32 s22, s14
	s_delay_alu instid0(VALU_DEP_1) | instskip(SKIP_2) | instid1(VALU_DEP_1)
	v_mad_co_u64_u32 v[6:7], null, s13, v8, v[4:5]
	v_mov_b32_e32 v2, v5
	s_mov_b32 s13, 0xbfe2cf23
	v_lshlrev_b64_e32 v[1:2], 4, v[1:2]
	s_delay_alu instid0(VALU_DEP_3) | instskip(NEXT) | instid1(VALU_DEP_2)
	v_mov_b32_e32 v4, v6
	v_add_co_u32 v1, vcc_lo, s18, v1
	s_delay_alu instid0(VALU_DEP_2) | instskip(NEXT) | instid1(VALU_DEP_4)
	v_lshlrev_b64_e32 v[3:4], 4, v[3:4]
	v_add_co_ci_u32_e32 v2, vcc_lo, s19, v2, vcc_lo
	s_mov_b32 s19, 0xbfee6f0e
	s_mov_b32 s18, s16
	s_delay_alu instid0(VALU_DEP_2)
	v_add_co_u32 v5, vcc_lo, v1, v3
	s_wait_alu 0xfffd
	v_add_co_ci_u32_e32 v6, vcc_lo, v2, v4, vcc_lo
	global_load_b128 v[13:16], v255, s[8:9]
	global_load_b128 v[1:4], v[5:6], off
	v_add_co_u32 v5, vcc_lo, v5, s2
	s_wait_alu 0xfffd
	v_add_co_ci_u32_e32 v6, vcc_lo, s3, v6, vcc_lo
	s_delay_alu instid0(VALU_DEP_2) | instskip(SKIP_1) | instid1(VALU_DEP_2)
	v_add_co_u32 v9, vcc_lo, v5, s2
	s_wait_alu 0xfffd
	v_add_co_ci_u32_e32 v10, vcc_lo, s3, v6, vcc_lo
	global_load_b128 v[33:36], v255, s[8:9] offset:512
	global_load_b128 v[5:8], v[5:6], off
	global_load_b128 v[45:48], v255, s[8:9] offset:1024
	global_load_b128 v[21:24], v[9:10], off
	v_add_co_u32 v9, vcc_lo, v9, s2
	s_wait_alu 0xfffd
	v_add_co_ci_u32_e32 v10, vcc_lo, s3, v10, vcc_lo
	global_load_b128 v[41:44], v255, s[8:9] offset:1536
	v_add_co_u32 v11, vcc_lo, v9, s2
	s_wait_alu 0xfffd
	v_add_co_ci_u32_e32 v12, vcc_lo, s3, v10, vcc_lo
	global_load_b128 v[25:28], v[9:10], off
	global_load_b128 v[37:40], v255, s[8:9] offset:2048
	global_load_b128 v[29:32], v[11:12], off
	v_add_co_u32 v11, vcc_lo, v11, s2
	s_wait_alu 0xfffd
	v_add_co_ci_u32_e32 v12, vcc_lo, s3, v12, vcc_lo
	s_wait_loadcnt 0x9
	v_mov_b32_e32 v18, v16
	v_dual_mov_b32 v17, v15 :: v_dual_mov_b32 v16, v14
	v_mov_b32_e32 v15, v13
	v_or_b32_e32 v0, v241, v174
	s_delay_alu instid0(VALU_DEP_4)
	v_mov_b32_e32 v52, v18
	s_wait_loadcnt 0x8
	v_mul_f64_e32 v[13:14], v[1:2], v[17:18]
	v_mov_b32_e32 v51, v17
	v_dual_mov_b32 v49, v15 :: v_dual_mov_b32 v50, v16
	s_wait_loadcnt 0x6
	v_mul_f64_e32 v[15:16], v[7:8], v[35:36]
	v_mul_f64_e32 v[9:10], v[3:4], v[17:18]
	;; [unrolled: 1-line block ×3, first 2 shown]
	s_wait_loadcnt 0x4
	v_mul_f64_e32 v[19:20], v[23:24], v[47:48]
	s_clause 0x1
	scratch_store_b128 off, v[49:52], off offset:304
	scratch_store_b128 off, v[45:48], off offset:128
	s_wait_loadcnt 0x3
	scratch_store_b128 off, v[41:44], off offset:64 ; 16-byte Folded Spill
	v_lshlrev_b32_e32 v254, 4, v0
	v_fma_f64 v[3:4], v[3:4], v[49:50], -v[13:14]
	s_wait_loadcnt 0x2
	v_mul_f64_e32 v[13:14], v[27:28], v[43:44]
	v_fma_f64 v[5:6], v[5:6], v[33:34], v[15:16]
	v_mul_f64_e32 v[15:16], v[25:26], v[43:44]
	v_fma_f64 v[7:8], v[7:8], v[33:34], -v[17:18]
	s_wait_loadcnt 0x0
	v_mul_f64_e32 v[17:18], v[31:32], v[39:40]
	v_fma_f64 v[81:82], v[21:22], v[45:46], v[19:20]
	v_fma_f64 v[85:86], v[25:26], v[41:42], v[13:14]
	v_fma_f64 v[87:88], v[27:28], v[41:42], -v[15:16]
	global_load_b128 v[13:16], v255, s[8:9] offset:2560
	global_load_b128 v[25:28], v[11:12], off
	v_fma_f64 v[89:90], v[29:30], v[37:38], v[17:18]
	s_wait_loadcnt 0x1
	v_mov_b32_e32 v18, v16
	v_mov_b32_e32 v17, v15
	v_fma_f64 v[1:2], v[1:2], v[49:50], v[9:10]
	v_mul_f64_e32 v[9:10], v[21:22], v[47:48]
	v_mov_b32_e32 v16, v14
	v_mov_b32_e32 v15, v13
	s_wait_loadcnt 0x0
	v_mul_f64_e32 v[13:14], v[25:26], v[17:18]
	s_clause 0x1
	scratch_store_b128 off, v[37:40], off
	scratch_store_b128 off, v[15:18], off offset:16
	v_fma_f64 v[83:84], v[23:24], v[45:46], -v[9:10]
	v_mul_f64_e32 v[9:10], v[29:30], v[39:40]
	v_fma_f64 v[97:98], v[27:28], v[15:16], -v[13:14]
	s_delay_alu instid0(VALU_DEP_2) | instskip(SKIP_1) | instid1(VALU_DEP_1)
	v_fma_f64 v[91:92], v[31:32], v[37:38], -v[9:10]
	v_mul_f64_e32 v[9:10], v[27:28], v[17:18]
	v_fma_f64 v[95:96], v[25:26], v[15:16], v[9:10]
	v_add_co_u32 v9, vcc_lo, v11, s2
	s_wait_alu 0xfffd
	v_add_co_ci_u32_e32 v10, vcc_lo, s3, v12, vcc_lo
	global_load_b128 v[15:18], v255, s[8:9] offset:3072
	scratch_store_b128 off, v[33:36], off offset:176 ; 16-byte Folded Spill
	global_load_b128 v[29:32], v[9:10], off
	v_add_co_u32 v9, vcc_lo, v9, s2
	s_wait_alu 0xfffd
	v_add_co_ci_u32_e32 v10, vcc_lo, s3, v10, vcc_lo
	global_load_b128 v[33:36], v[9:10], off
	v_add_co_u32 v9, vcc_lo, v9, s2
	s_wait_alu 0xfffd
	v_add_co_ci_u32_e32 v10, vcc_lo, s3, v10, vcc_lo
	;; [unrolled: 4-line block ×3, first 2 shown]
	global_load_b128 v[41:44], v[9:10], off
	v_mad_co_u64_u32 v[9:10], null, 0xffffef00, s12, v[9:10]
	s_delay_alu instid0(VALU_DEP_1)
	v_add_nc_u32_e32 v10, s4, v10
	global_load_b128 v[45:48], v[9:10], off
	v_add_co_u32 v9, vcc_lo, v9, s2
	s_wait_alu 0xfffd
	v_add_co_ci_u32_e32 v10, vcc_lo, s3, v10, vcc_lo
	global_load_b128 v[49:52], v[9:10], off
	v_add_co_u32 v9, vcc_lo, v9, s2
	s_wait_alu 0xfffd
	v_add_co_ci_u32_e32 v10, vcc_lo, s3, v10, vcc_lo
	global_load_b128 v[53:56], v[9:10], off
	v_add_co_u32 v9, vcc_lo, v9, s2
	s_wait_alu 0xfffd
	v_add_co_ci_u32_e32 v10, vcc_lo, s3, v10, vcc_lo
	global_load_b128 v[57:60], v[9:10], off
	v_add_co_u32 v9, vcc_lo, v9, s2
	s_wait_alu 0xfffd
	v_add_co_ci_u32_e32 v10, vcc_lo, s3, v10, vcc_lo
	global_load_b128 v[61:64], v[9:10], off
	v_add_co_u32 v9, vcc_lo, v9, s2
	s_wait_alu 0xfffd
	v_add_co_ci_u32_e32 v10, vcc_lo, s3, v10, vcc_lo
	global_load_b128 v[65:68], v[9:10], off
	v_add_co_u32 v9, vcc_lo, v9, s2
	s_wait_alu 0xfffd
	v_add_co_ci_u32_e32 v10, vcc_lo, s3, v10, vcc_lo
	global_load_b128 v[69:72], v[9:10], off
	v_add_co_u32 v9, vcc_lo, v9, s2
	s_wait_alu 0xfffd
	v_add_co_ci_u32_e32 v10, vcc_lo, s3, v10, vcc_lo
	global_load_b128 v[73:76], v[9:10], off
	v_add_co_u32 v9, vcc_lo, v9, s2
	s_wait_alu 0xfffd
	v_add_co_ci_u32_e32 v10, vcc_lo, s3, v10, vcc_lo
	global_load_b128 v[77:80], v[9:10], off
	v_add_co_u32 v9, vcc_lo, v9, s2
	s_wait_alu 0xfffd
	v_add_co_ci_u32_e32 v10, vcc_lo, s3, v10, vcc_lo
	s_mov_b32 s2, 0x4755a5e
	s_mov_b32 s3, 0x3fe2cf23
	s_wait_alu 0xfffe
	s_mov_b32 s12, s2
	v_cmp_gt_u32_e32 vcc_lo, 10, v174
	s_wait_loadcnt 0xd
	scratch_store_b128 off, v[15:18], off offset:32 ; 16-byte Folded Spill
	s_wait_loadcnt 0xc
	v_mul_f64_e32 v[11:12], v[31:32], v[17:18]
	v_mul_f64_e32 v[13:14], v[29:30], v[17:18]
	s_delay_alu instid0(VALU_DEP_2) | instskip(NEXT) | instid1(VALU_DEP_2)
	v_fma_f64 v[99:100], v[29:30], v[15:16], v[11:12]
	v_fma_f64 v[101:102], v[31:32], v[15:16], -v[13:14]
	global_load_b128 v[15:18], v255, s[8:9] offset:3584
	s_wait_loadcnt 0x0
	v_mul_f64_e32 v[11:12], v[35:36], v[17:18]
	v_mul_f64_e32 v[13:14], v[33:34], v[17:18]
	scratch_store_b128 off, v[15:18], off offset:48 ; 16-byte Folded Spill
	v_fma_f64 v[103:104], v[33:34], v[15:16], v[11:12]
	v_fma_f64 v[105:106], v[35:36], v[15:16], -v[13:14]
	global_load_b128 v[15:18], v255, s[8:9] offset:4096
	s_wait_loadcnt 0x0
	v_mul_f64_e32 v[11:12], v[39:40], v[17:18]
	v_mul_f64_e32 v[13:14], v[37:38], v[17:18]
	scratch_store_b128 off, v[15:18], off offset:80 ; 16-byte Folded Spill
	;; [unrolled: 7-line block ×12, first 2 shown]
	v_fma_f64 v[148:149], v[77:78], v[15:16], v[11:12]
	v_fma_f64 v[150:151], v[79:80], v[15:16], -v[13:14]
	global_load_b128 v[152:155], v[9:10], off
	global_load_b128 v[13:16], v255, s[8:9] offset:4864
	s_wait_loadcnt 0x0
	v_mul_f64_e32 v[9:10], v[154:155], v[15:16]
	v_mul_f64_e32 v[11:12], v[152:153], v[15:16]
	scratch_store_b128 off, v[13:16], off offset:288 ; 16-byte Folded Spill
	ds_store_b128 v254, v[1:4]
	ds_store_b128 v254, v[5:8] offset:512
	v_fma_f64 v[152:153], v[152:153], v[13:14], v[9:10]
	v_fma_f64 v[154:155], v[154:155], v[13:14], -v[11:12]
	ds_store_b128 v253, v[81:84] offset:1024
	ds_store_b128 v253, v[85:88] offset:1536
	;; [unrolled: 1-line block ×18, first 2 shown]
	s_load_b128 s[4:7], s[6:7], 0x0
	global_wb scope:SCOPE_SE
	s_wait_storecnt_dscnt 0x0
	s_wait_kmcnt 0x0
	s_barrier_signal -1
	s_barrier_wait -1
	global_inv scope:SCOPE_SE
	ds_load_b128 v[0:3], v253 offset:1024
	ds_load_b128 v[81:84], v254
	ds_load_b128 v[4:7], v253 offset:2048
	ds_load_b128 v[89:92], v253 offset:3072
	ds_load_b128 v[85:88], v253 offset:4096
	s_wait_dscnt 0x3
	v_add_f64_e32 v[8:9], v[81:82], v[0:1]
	s_wait_dscnt 0x2
	v_add_f64_e64 v[107:108], v[0:1], -v[4:5]
	v_add_f64_e64 v[103:104], v[4:5], -v[0:1]
	;; [unrolled: 1-line block ×4, first 2 shown]
	s_wait_dscnt 0x0
	v_add_f64_e64 v[99:100], v[2:3], -v[87:88]
	v_add_f64_e32 v[115:116], v[0:1], v[85:86]
	v_add_f64_e64 v[101:102], v[0:1], -v[85:86]
	v_add_f64_e32 v[117:118], v[2:3], v[87:88]
	v_add_f64_e32 v[111:112], v[4:5], v[89:90]
	v_add_f64_e64 v[95:96], v[6:7], -v[91:92]
	v_add_f64_e32 v[113:114], v[6:7], v[91:92]
	v_add_f64_e64 v[97:98], v[4:5], -v[89:90]
	v_add_f64_e64 v[11:12], v[89:90], -v[85:86]
	;; [unrolled: 1-line block ×4, first 2 shown]
	v_add_f64_e32 v[121:122], v[8:9], v[4:5]
	v_add_f64_e32 v[8:9], v[83:84], v[2:3]
	v_fma_f64 v[115:116], v[115:116], -0.5, v[81:82]
	v_fma_f64 v[117:118], v[117:118], -0.5, v[83:84]
	v_add_f64_e32 v[11:12], v[103:104], v[11:12]
	v_add_f64_e32 v[13:14], v[109:110], v[13:14]
	v_add_f64_e32 v[15:16], v[105:106], v[15:16]
	v_add_f64_e32 v[0:1], v[121:122], v[89:90]
	v_add_f64_e32 v[119:120], v[8:9], v[6:7]
	v_add_f64_e64 v[9:10], v[85:86], -v[89:90]
	s_delay_alu instid0(VALU_DEP_3) | instskip(NEXT) | instid1(VALU_DEP_3)
	v_add_f64_e32 v[17:18], v[0:1], v[85:86]
	v_add_f64_e32 v[2:3], v[119:120], v[91:92]
	s_delay_alu instid0(VALU_DEP_3) | instskip(NEXT) | instid1(VALU_DEP_2)
	v_add_f64_e32 v[9:10], v[107:108], v[9:10]
	v_add_f64_e32 v[19:20], v[2:3], v[87:88]
	ds_load_b128 v[0:3], v254 offset:512
	ds_load_b128 v[4:7], v253 offset:1536
	ds_load_b128 v[85:88], v253 offset:4608
	ds_load_b128 v[89:92], v253 offset:2560
	s_wait_dscnt 0x2
	v_add_f64_e32 v[21:22], v[0:1], v[4:5]
	v_add_f64_e32 v[23:24], v[2:3], v[6:7]
	s_wait_dscnt 0x1
	v_add_f64_e64 v[25:26], v[6:7], -v[87:88]
	s_wait_dscnt 0x0
	v_add_f64_e64 v[27:28], v[4:5], -v[89:90]
	v_add_f64_e32 v[29:30], v[4:5], v[85:86]
	v_add_f64_e32 v[31:32], v[6:7], v[87:88]
	v_add_f64_e64 v[33:34], v[89:90], -v[4:5]
	v_add_f64_e64 v[35:36], v[4:5], -v[85:86]
	;; [unrolled: 1-line block ×4, first 2 shown]
	ds_load_b128 v[4:7], v253 offset:3584
	s_wait_dscnt 0x0
	v_add_f64_e32 v[41:42], v[89:90], v[4:5]
	v_add_f64_e64 v[43:44], v[91:92], -v[6:7]
	v_add_f64_e32 v[45:46], v[91:92], v[6:7]
	v_add_f64_e64 v[47:48], v[89:90], -v[4:5]
	v_add_f64_e64 v[49:50], v[85:86], -v[4:5]
	;; [unrolled: 1-line block ×5, first 2 shown]
	v_add_f64_e32 v[21:22], v[21:22], v[89:90]
	v_add_f64_e32 v[23:24], v[23:24], v[91:92]
	v_fma_f64 v[29:30], v[29:30], -0.5, v[0:1]
	v_fma_f64 v[31:32], v[31:32], -0.5, v[2:3]
	;; [unrolled: 1-line block ×3, first 2 shown]
	v_mul_u32_u24_e32 v0, 10, v174
	v_fma_f64 v[45:46], v[45:46], -0.5, v[2:3]
	v_add_f64_e32 v[21:22], v[21:22], v[4:5]
	v_add_f64_e32 v[23:24], v[23:24], v[6:7]
	s_delay_alu instid0(VALU_DEP_2) | instskip(NEXT) | instid1(VALU_DEP_2)
	v_add_f64_e32 v[21:22], v[21:22], v[85:86]
	v_add_f64_e32 v[23:24], v[23:24], v[87:88]
	ds_load_b128 v[4:7], v254 offset:256
	ds_load_b128 v[85:88], v253 offset:1280
	;; [unrolled: 1-line block ×4, first 2 shown]
	s_wait_dscnt 0x2
	v_add_f64_e32 v[57:58], v[4:5], v[85:86]
	v_add_f64_e32 v[59:60], v[6:7], v[87:88]
	s_wait_dscnt 0x0
	v_add_f64_e32 v[61:62], v[89:90], v[119:120]
	v_add_f64_e64 v[63:64], v[91:92], -v[121:122]
	v_add_f64_e64 v[65:66], v[85:86], -v[89:90]
	;; [unrolled: 1-line block ×3, first 2 shown]
	v_add_f64_e32 v[69:70], v[91:92], v[121:122]
	v_add_f64_e64 v[71:72], v[89:90], -v[119:120]
	v_add_f64_e64 v[73:74], v[87:88], -v[91:92]
	;; [unrolled: 1-line block ×3, first 2 shown]
	v_add_f64_e32 v[1:2], v[17:18], v[21:22]
	v_add_f64_e32 v[57:58], v[57:58], v[89:90]
	;; [unrolled: 1-line block ×3, first 2 shown]
	ds_load_b128 v[89:92], v253 offset:4352
	v_fma_f64 v[61:62], v[61:62], -0.5, v[4:5]
	v_fma_f64 v[69:70], v[69:70], -0.5, v[6:7]
	s_wait_dscnt 0x0
	v_add_f64_e32 v[79:80], v[85:86], v[89:90]
	v_add_f64_e32 v[128:129], v[87:88], v[91:92]
	v_add_f64_e64 v[77:78], v[87:88], -v[91:92]
	v_add_f64_e64 v[148:149], v[85:86], -v[89:90]
	;; [unrolled: 1-line block ×6, first 2 shown]
	v_add_f64_e32 v[57:58], v[57:58], v[119:120]
	v_add_f64_e32 v[59:60], v[59:60], v[121:122]
	v_fma_f64 v[79:80], v[79:80], -0.5, v[4:5]
	v_fma_f64 v[172:173], v[128:129], -0.5, v[6:7]
	v_add_f64_e64 v[5:6], v[17:18], -v[21:22]
	v_fma_f64 v[21:22], v[25:26], s[16:17], v[41:42]
	v_add_f64_e32 v[3:4], v[19:20], v[23:24]
	v_add_f64_e64 v[7:8], v[19:20], -v[23:24]
	v_add_f64_e32 v[17:18], v[27:28], v[49:50]
	v_fma_f64 v[23:24], v[35:36], s[18:19], v[45:46]
	v_add_f64_e32 v[19:20], v[37:38], v[53:54]
	v_add_f64_e32 v[57:58], v[57:58], v[89:90]
	;; [unrolled: 1-line block ×3, first 2 shown]
	ds_load_b128 v[85:88], v254 offset:768
	ds_load_b128 v[89:92], v253 offset:1792
	;; [unrolled: 1-line block ×4, first 2 shown]
	s_wait_dscnt 0x2
	v_add_f64_e32 v[138:139], v[85:86], v[89:90]
	v_add_f64_e32 v[140:141], v[87:88], v[91:92]
	s_wait_dscnt 0x1
	v_add_f64_e64 v[150:151], v[91:92], -v[121:122]
	v_fma_f64 v[21:22], v[43:44], s[2:3], v[21:22]
	s_wait_dscnt 0x0
	v_add_f64_e64 v[142:143], v[89:90], -v[124:125]
	v_add_f64_e32 v[144:145], v[89:90], v[119:120]
	v_add_f64_e64 v[146:147], v[124:125], -v[89:90]
	v_add_f64_e64 v[152:153], v[89:90], -v[119:120]
	;; [unrolled: 1-line block ×3, first 2 shown]
	v_add_f64_e32 v[156:157], v[91:92], v[121:122]
	v_add_f64_e64 v[158:159], v[126:127], -v[91:92]
	ds_load_b128 v[89:92], v253 offset:3840
	v_fma_f64 v[23:24], v[47:48], s[12:13], v[23:24]
	global_wb scope:SCOPE_SE
	s_wait_dscnt 0x0
	s_barrier_signal -1
	s_barrier_wait -1
	global_inv scope:SCOPE_SE
	v_add_f64_e32 v[160:161], v[124:125], v[89:90]
	v_add_f64_e64 v[164:165], v[124:125], -v[89:90]
	v_add_f64_e32 v[162:163], v[126:127], v[91:92]
	v_add_f64_e64 v[166:167], v[126:127], -v[91:92]
	v_add_f64_e64 v[168:169], v[121:122], -v[91:92]
	;; [unrolled: 1-line block ×3, first 2 shown]
	v_add_f64_e32 v[138:139], v[138:139], v[124:125]
	v_add_f64_e32 v[140:141], v[140:141], v[126:127]
	v_fma_f64 v[21:22], v[17:18], s[14:15], v[21:22]
	v_fma_f64 v[144:145], v[144:145], -0.5, v[85:86]
	v_fma_f64 v[156:157], v[156:157], -0.5, v[87:88]
	v_fma_f64 v[23:24], v[19:20], s[14:15], v[23:24]
	v_fma_f64 v[160:161], v[160:161], -0.5, v[85:86]
	v_fma_f64 v[162:163], v[162:163], -0.5, v[87:88]
	v_add_f64_e32 v[124:125], v[138:139], v[89:90]
	v_add_f64_e32 v[126:127], v[140:141], v[91:92]
	v_add_f64_e64 v[138:139], v[119:120], -v[89:90]
	v_add_f64_e64 v[140:141], v[89:90], -v[119:120]
	v_mul_f64_e32 v[27:28], s[20:21], v[21:22]
	v_mul_f64_e32 v[21:22], s[12:13], v[21:22]
	v_add_f64_e32 v[89:90], v[124:125], v[119:120]
	v_fma_f64 v[124:125], v[111:112], -0.5, v[81:82]
	v_add_f64_e32 v[91:92], v[126:127], v[121:122]
	v_fma_f64 v[126:127], v[113:114], -0.5, v[83:84]
	v_fma_f64 v[27:28], v[23:24], s[2:3], v[27:28]
	v_fma_f64 v[21:22], v[23:24], s[20:21], v[21:22]
	v_add_f64_e32 v[81:82], v[57:58], v[89:90]
	v_fma_f64 v[23:24], v[99:100], s[16:17], v[124:125]
	v_add_f64_e64 v[85:86], v[57:58], -v[89:90]
	v_fma_f64 v[37:38], v[101:102], s[18:19], v[126:127]
	v_add_f64_e32 v[83:84], v[59:60], v[91:92]
	v_add_f64_e64 v[87:88], v[59:60], -v[91:92]
	v_fma_f64 v[23:24], v[95:96], s[2:3], v[23:24]
	s_delay_alu instid0(VALU_DEP_4) | instskip(NEXT) | instid1(VALU_DEP_2)
	v_fma_f64 v[37:38], v[97:98], s[12:13], v[37:38]
	v_fma_f64 v[23:24], v[9:10], s[14:15], v[23:24]
	s_delay_alu instid0(VALU_DEP_2) | instskip(NEXT) | instid1(VALU_DEP_2)
	v_fma_f64 v[37:38], v[13:14], s[14:15], v[37:38]
	v_add_f64_e32 v[89:90], v[23:24], v[27:28]
	v_add_f64_e64 v[107:108], v[23:24], -v[27:28]
	v_fma_f64 v[27:28], v[47:48], s[16:17], v[31:32]
	s_delay_alu instid0(VALU_DEP_4)
	v_add_f64_e32 v[91:92], v[37:38], v[21:22]
	v_add_f64_e64 v[109:110], v[37:38], -v[21:22]
	v_add_f64_e32 v[21:22], v[33:34], v[51:52]
	v_add_f64_e32 v[23:24], v[39:40], v[55:56]
	v_fma_f64 v[33:34], v[43:44], s[18:19], v[29:30]
	v_fma_f64 v[39:40], v[97:98], s[16:17], v[117:118]
	;; [unrolled: 1-line block ×3, first 2 shown]
	s_delay_alu instid0(VALU_DEP_3) | instskip(NEXT) | instid1(VALU_DEP_3)
	v_fma_f64 v[33:34], v[25:26], s[2:3], v[33:34]
	v_fma_f64 v[39:40], v[101:102], s[12:13], v[39:40]
	s_delay_alu instid0(VALU_DEP_3) | instskip(NEXT) | instid1(VALU_DEP_3)
	v_fma_f64 v[27:28], v[23:24], s[14:15], v[27:28]
	v_fma_f64 v[33:34], v[21:22], s[14:15], v[33:34]
	s_delay_alu instid0(VALU_DEP_3) | instskip(NEXT) | instid1(VALU_DEP_3)
	v_fma_f64 v[39:40], v[15:16], s[14:15], v[39:40]
	v_mul_f64_e32 v[37:38], s[16:17], v[27:28]
	s_delay_alu instid0(VALU_DEP_1) | instskip(SKIP_1) | instid1(VALU_DEP_1)
	v_fma_f64 v[37:38], v[33:34], s[14:15], v[37:38]
	v_mul_f64_e32 v[33:34], s[18:19], v[33:34]
	v_fma_f64 v[27:28], v[27:28], s[14:15], v[33:34]
	v_fma_f64 v[33:34], v[95:96], s[18:19], v[115:116]
	s_delay_alu instid0(VALU_DEP_2) | instskip(SKIP_2) | instid1(VALU_DEP_4)
	v_add_f64_e32 v[105:106], v[39:40], v[27:28]
	v_add_f64_e64 v[113:114], v[39:40], -v[27:28]
	v_fma_f64 v[27:28], v[43:44], s[16:17], v[29:30]
	v_fma_f64 v[33:34], v[99:100], s[2:3], v[33:34]
	s_delay_alu instid0(VALU_DEP_2) | instskip(NEXT) | instid1(VALU_DEP_2)
	v_fma_f64 v[27:28], v[25:26], s[12:13], v[27:28]
	v_fma_f64 v[33:34], v[11:12], s[14:15], v[33:34]
	s_delay_alu instid0(VALU_DEP_2) | instskip(SKIP_2) | instid1(VALU_DEP_4)
	v_fma_f64 v[21:22], v[21:22], s[14:15], v[27:28]
	v_fma_f64 v[27:28], v[47:48], s[18:19], v[31:32]
	;; [unrolled: 1-line block ×3, first 2 shown]
	v_add_f64_e32 v[103:104], v[33:34], v[37:38]
	v_add_f64_e64 v[111:112], v[33:34], -v[37:38]
	s_delay_alu instid0(VALU_DEP_4) | instskip(NEXT) | instid1(VALU_DEP_4)
	v_fma_f64 v[27:28], v[35:36], s[2:3], v[27:28]
	v_fma_f64 v[31:32], v[148:149], s[12:13], v[31:32]
	s_delay_alu instid0(VALU_DEP_2) | instskip(SKIP_1) | instid1(VALU_DEP_1)
	v_fma_f64 v[23:24], v[23:24], s[14:15], v[27:28]
	v_fma_f64 v[27:28], v[95:96], s[16:17], v[115:116]
	;; [unrolled: 1-line block ×3, first 2 shown]
	s_delay_alu instid0(VALU_DEP_1) | instskip(SKIP_1) | instid1(VALU_DEP_1)
	v_fma_f64 v[11:12], v[11:12], s[14:15], v[27:28]
	v_fma_f64 v[27:28], v[97:98], s[18:19], v[117:118]
	;; [unrolled: 1-line block ×3, first 2 shown]
	s_delay_alu instid0(VALU_DEP_1) | instskip(SKIP_1) | instid1(VALU_DEP_1)
	v_fma_f64 v[15:16], v[15:16], s[14:15], v[27:28]
	v_mul_f64_e32 v[27:28], s[22:23], v[21:22]
	v_fma_f64 v[27:28], v[23:24], s[16:17], v[27:28]
	v_mul_f64_e32 v[23:24], s[22:23], v[23:24]
	s_delay_alu instid0(VALU_DEP_2) | instskip(NEXT) | instid1(VALU_DEP_2)
	v_add_f64_e32 v[115:116], v[11:12], v[27:28]
	v_fma_f64 v[21:22], v[21:22], s[18:19], v[23:24]
	v_add_f64_e64 v[119:120], v[11:12], -v[27:28]
	v_fma_f64 v[11:12], v[25:26], s[18:19], v[41:42]
	v_fma_f64 v[23:24], v[101:102], s[16:17], v[126:127]
	;; [unrolled: 1-line block ×4, first 2 shown]
	v_add_f64_e32 v[117:118], v[15:16], v[21:22]
	v_add_f64_e64 v[121:122], v[15:16], -v[21:22]
	v_fma_f64 v[15:16], v[35:36], s[16:17], v[45:46]
	v_fma_f64 v[11:12], v[43:44], s[12:13], v[11:12]
	;; [unrolled: 1-line block ×12, first 2 shown]
	v_mul_f64_e32 v[17:18], s[24:25], v[11:12]
	v_fma_f64 v[9:10], v[9:10], s[14:15], v[21:22]
	v_fma_f64 v[19:20], v[152:153], s[18:19], v[162:163]
	;; [unrolled: 1-line block ×3, first 2 shown]
	s_delay_alu instid0(VALU_DEP_4) | instskip(SKIP_1) | instid1(VALU_DEP_4)
	v_fma_f64 v[17:18], v[15:16], s[2:3], v[17:18]
	v_mul_f64_e32 v[15:16], s[24:25], v[15:16]
	v_fma_f64 v[19:20], v[164:165], s[12:13], v[19:20]
	s_delay_alu instid0(VALU_DEP_3) | instskip(NEXT) | instid1(VALU_DEP_3)
	v_add_f64_e32 v[95:96], v[9:10], v[17:18]
	v_fma_f64 v[11:12], v[11:12], s[12:13], v[15:16]
	v_add_f64_e64 v[99:100], v[9:10], -v[17:18]
	v_fma_f64 v[17:18], v[150:151], s[16:17], v[160:161]
	v_add_f64_e32 v[15:16], v[154:155], v[168:169]
	v_add_f64_e32 v[9:10], v[65:66], v[130:131]
	;; [unrolled: 1-line block ×3, first 2 shown]
	v_add_f64_e64 v[101:102], v[13:14], -v[11:12]
	v_add_f64_e32 v[13:14], v[142:143], v[138:139]
	v_fma_f64 v[17:18], v[166:167], s[2:3], v[17:18]
	v_fma_f64 v[19:20], v[15:16], s[14:15], v[19:20]
	v_add_f64_e32 v[11:12], v[73:74], v[134:135]
	s_delay_alu instid0(VALU_DEP_3) | instskip(NEXT) | instid1(VALU_DEP_2)
	v_fma_f64 v[17:18], v[13:14], s[14:15], v[17:18]
	v_fma_f64 v[23:24], v[11:12], s[14:15], v[23:24]
	s_delay_alu instid0(VALU_DEP_2) | instskip(SKIP_1) | instid1(VALU_DEP_2)
	v_mul_f64_e32 v[21:22], s[20:21], v[17:18]
	v_mul_f64_e32 v[17:18], s[12:13], v[17:18]
	v_fma_f64 v[21:22], v[19:20], s[2:3], v[21:22]
	s_delay_alu instid0(VALU_DEP_2) | instskip(SKIP_1) | instid1(VALU_DEP_2)
	v_fma_f64 v[17:18], v[19:20], s[20:21], v[17:18]
	v_fma_f64 v[19:20], v[77:78], s[16:17], v[61:62]
	v_add_f64_e32 v[126:127], v[23:24], v[17:18]
	s_delay_alu instid0(VALU_DEP_2) | instskip(SKIP_3) | instid1(VALU_DEP_4)
	v_fma_f64 v[19:20], v[63:64], s[2:3], v[19:20]
	v_add_f64_e64 v[130:131], v[23:24], -v[17:18]
	v_add_f64_e32 v[23:24], v[158:159], v[170:171]
	v_add_f64_e32 v[17:18], v[67:68], v[132:133]
	v_fma_f64 v[19:20], v[9:10], s[14:15], v[19:20]
	s_delay_alu instid0(VALU_DEP_3) | instskip(NEXT) | instid1(VALU_DEP_2)
	v_fma_f64 v[25:26], v[23:24], s[14:15], v[25:26]
	v_add_f64_e32 v[124:125], v[19:20], v[21:22]
	v_add_f64_e64 v[128:129], v[19:20], -v[21:22]
	v_add_f64_e32 v[21:22], v[146:147], v[140:141]
	s_delay_alu instid0(VALU_DEP_4) | instskip(SKIP_1) | instid1(VALU_DEP_3)
	v_mul_f64_e32 v[29:30], s[16:17], v[25:26]
	v_add_f64_e32 v[19:20], v[75:76], v[136:137]
	v_fma_f64 v[27:28], v[21:22], s[14:15], v[27:28]
	s_delay_alu instid0(VALU_DEP_2) | instskip(NEXT) | instid1(VALU_DEP_2)
	v_fma_f64 v[31:32], v[19:20], s[14:15], v[31:32]
	v_fma_f64 v[29:30], v[27:28], s[14:15], v[29:30]
	v_mul_f64_e32 v[27:28], s[18:19], v[27:28]
	s_delay_alu instid0(VALU_DEP_1) | instskip(SKIP_1) | instid1(VALU_DEP_2)
	v_fma_f64 v[25:26], v[25:26], s[14:15], v[27:28]
	v_fma_f64 v[27:28], v[63:64], s[18:19], v[79:80]
	v_add_f64_e32 v[134:135], v[31:32], v[25:26]
	v_add_f64_e64 v[138:139], v[31:32], -v[25:26]
	v_fma_f64 v[25:26], v[166:167], s[16:17], v[144:145]
	s_delay_alu instid0(VALU_DEP_4) | instskip(NEXT) | instid1(VALU_DEP_2)
	v_fma_f64 v[27:28], v[77:78], s[2:3], v[27:28]
	v_fma_f64 v[25:26], v[150:151], s[12:13], v[25:26]
	s_delay_alu instid0(VALU_DEP_2) | instskip(NEXT) | instid1(VALU_DEP_2)
	v_fma_f64 v[27:28], v[17:18], s[14:15], v[27:28]
	v_fma_f64 v[21:22], v[21:22], s[14:15], v[25:26]
	;; [unrolled: 1-line block ×3, first 2 shown]
	s_delay_alu instid0(VALU_DEP_3) | instskip(SKIP_1) | instid1(VALU_DEP_3)
	v_add_f64_e32 v[132:133], v[27:28], v[29:30]
	v_add_f64_e64 v[136:137], v[27:28], -v[29:30]
	v_fma_f64 v[25:26], v[152:153], s[2:3], v[25:26]
	s_delay_alu instid0(VALU_DEP_1) | instskip(SKIP_1) | instid1(VALU_DEP_1)
	v_fma_f64 v[23:24], v[23:24], s[14:15], v[25:26]
	v_fma_f64 v[25:26], v[63:64], s[16:17], v[79:80]
	;; [unrolled: 1-line block ×3, first 2 shown]
	s_delay_alu instid0(VALU_DEP_1) | instskip(SKIP_1) | instid1(VALU_DEP_1)
	v_fma_f64 v[17:18], v[17:18], s[14:15], v[25:26]
	v_fma_f64 v[25:26], v[71:72], s[18:19], v[172:173]
	;; [unrolled: 1-line block ×3, first 2 shown]
	s_delay_alu instid0(VALU_DEP_1) | instskip(SKIP_1) | instid1(VALU_DEP_1)
	v_fma_f64 v[19:20], v[19:20], s[14:15], v[25:26]
	v_mul_f64_e32 v[25:26], s[22:23], v[21:22]
	v_fma_f64 v[25:26], v[23:24], s[16:17], v[25:26]
	v_mul_f64_e32 v[23:24], s[22:23], v[23:24]
	s_delay_alu instid0(VALU_DEP_2) | instskip(NEXT) | instid1(VALU_DEP_2)
	v_add_f64_e32 v[140:141], v[17:18], v[25:26]
	v_fma_f64 v[21:22], v[21:22], s[18:19], v[23:24]
	v_add_f64_e64 v[144:145], v[17:18], -v[25:26]
	v_fma_f64 v[17:18], v[150:151], s[18:19], v[160:161]
	v_fma_f64 v[23:24], v[148:149], s[16:17], v[69:70]
	s_delay_alu instid0(VALU_DEP_4)
	v_add_f64_e32 v[142:143], v[19:20], v[21:22]
	v_add_f64_e64 v[146:147], v[19:20], -v[21:22]
	v_fma_f64 v[19:20], v[152:153], s[16:17], v[162:163]
	v_fma_f64 v[17:18], v[166:167], s[12:13], v[17:18]
	;; [unrolled: 1-line block ×4, first 2 shown]
	s_delay_alu instid0(VALU_DEP_4) | instskip(NEXT) | instid1(VALU_DEP_4)
	v_fma_f64 v[19:20], v[164:165], s[2:3], v[19:20]
	v_fma_f64 v[13:14], v[13:14], s[14:15], v[17:18]
	s_delay_alu instid0(VALU_DEP_4) | instskip(NEXT) | instid1(VALU_DEP_4)
	v_fma_f64 v[21:22], v[63:64], s[12:13], v[21:22]
	v_fma_f64 v[11:12], v[11:12], s[14:15], v[23:24]
	v_mov_b32_e32 v23, v174
	v_fma_f64 v[15:16], v[15:16], s[14:15], v[19:20]
	v_mul_f64_e32 v[17:18], s[24:25], v[13:14]
	v_fma_f64 v[9:10], v[9:10], s[14:15], v[21:22]
	v_mov_b32_e32 v19, v123
	s_delay_alu instid0(VALU_DEP_3) | instskip(SKIP_1) | instid1(VALU_DEP_2)
	v_fma_f64 v[17:18], v[15:16], s[2:3], v[17:18]
	v_mul_f64_e32 v[15:16], s[24:25], v[15:16]
	v_add_f64_e32 v[148:149], v[9:10], v[17:18]
	s_delay_alu instid0(VALU_DEP_2) | instskip(SKIP_2) | instid1(VALU_DEP_3)
	v_fma_f64 v[13:14], v[13:14], s[12:13], v[15:16]
	v_add_f64_e64 v[152:153], v[9:10], -v[17:18]
	v_or_b32_e32 v9, 16, v174
	v_add_f64_e32 v[150:151], v[11:12], v[13:14]
	v_add_f64_e64 v[154:155], v[11:12], -v[13:14]
	v_add_lshl_u32 v12, v241, v0, 4
	s_delay_alu instid0(VALU_DEP_4)
	v_mul_u32_u24_e32 v0, 10, v9
	ds_store_b128 v12, v[1:4]
	ds_store_b128 v12, v[5:8] offset:80
	ds_store_b128 v12, v[89:92] offset:16
	;; [unrolled: 1-line block ×9, first 2 shown]
	v_add_lshl_u32 v79, v241, v0, 4
	v_add_nc_u32_e32 v0, -10, v174
	ds_store_b128 v79, v[81:84]
	ds_store_b128 v79, v[124:127] offset:16
	ds_store_b128 v79, v[132:135] offset:32
	;; [unrolled: 1-line block ×9, first 2 shown]
	v_cndmask_b32_e32 v6, v0, v174, vcc_lo
	global_wb scope:SCOPE_SE
	s_wait_dscnt 0x0
	s_barrier_signal -1
	s_barrier_wait -1
	global_inv scope:SCOPE_SE
	v_mul_i32_i24_e32 v0, 48, v6
	v_mul_hi_i32_i24_e32 v1, 48, v6
	ds_load_b128 v[2:5], v254 offset:1280
	ds_load_b128 v[95:98], v254 offset:1536
	ds_load_b128 v[105:108], v254 offset:1792
	v_add_co_u32 v0, vcc_lo, s10, v0
	s_wait_alu 0xfffd
	v_add_co_ci_u32_e32 v1, vcc_lo, s11, v1, vcc_lo
	v_cmp_lt_u32_e32 vcc_lo, 9, v23
	ds_load_b128 v[101:104], v254 offset:4096
	ds_load_b128 v[177:180], v254 offset:3584
	s_clause 0x2
	global_load_b128 v[81:84], v[0:1], off
	global_load_b128 v[121:124], v[0:1], off offset:16
	global_load_b128 v[129:132], v[0:1], off offset:32
	ds_load_b128 v[198:201], v254 offset:4864
	s_wait_loadcnt_dscnt 0x205
	v_mul_f64_e32 v[7:8], v[4:5], v[83:84]
	s_delay_alu instid0(VALU_DEP_1) | instskip(SKIP_1) | instid1(VALU_DEP_1)
	v_fma_f64 v[85:86], v[2:3], v[81:82], -v[7:8]
	v_mul_f64_e32 v[2:3], v[2:3], v[83:84]
	v_fma_f64 v[87:88], v[4:5], v[81:82], v[2:3]
	ds_load_b128 v[2:5], v254 offset:2560
	s_wait_loadcnt_dscnt 0x100
	v_mul_f64_e32 v[7:8], v[4:5], v[123:124]
	s_delay_alu instid0(VALU_DEP_1) | instskip(SKIP_1) | instid1(VALU_DEP_1)
	v_fma_f64 v[10:11], v[2:3], v[121:122], -v[7:8]
	v_mul_f64_e32 v[2:3], v[2:3], v[123:124]
	v_fma_f64 v[13:14], v[4:5], v[121:122], v[2:3]
	ds_load_b128 v[2:5], v254 offset:3840
	s_wait_loadcnt_dscnt 0x0
	v_mul_f64_e32 v[0:1], v[4:5], v[131:132]
	s_delay_alu instid0(VALU_DEP_1) | instskip(SKIP_1) | instid1(VALU_DEP_2)
	v_fma_f64 v[0:1], v[2:3], v[129:130], -v[0:1]
	v_mul_f64_e32 v[2:3], v[2:3], v[131:132]
	v_add_f64_e64 v[0:1], v[85:86], -v[0:1]
	s_delay_alu instid0(VALU_DEP_2) | instskip(SKIP_1) | instid1(VALU_DEP_1)
	v_fma_f64 v[15:16], v[4:5], v[129:130], v[2:3]
	v_mul_lo_u16 v2, v9, 26
	v_lshrrev_b16 v2, 8, v2
	s_delay_alu instid0(VALU_DEP_1) | instskip(NEXT) | instid1(VALU_DEP_1)
	v_mul_lo_u16 v3, v2, 10
	v_sub_nc_u16 v3, v9, v3
	s_delay_alu instid0(VALU_DEP_1) | instskip(SKIP_1) | instid1(VALU_DEP_2)
	v_and_b32_e32 v4, 0xff, v3
	v_mad_u16 v2, v2, 40, v3
	v_mad_co_u64_u32 v[4:5], null, v4, 48, s[10:11]
	s_delay_alu instid0(VALU_DEP_2)
	v_and_b32_e32 v2, 0xff, v2
	s_clause 0x2
	global_load_b128 v[133:136], v[4:5], off
	global_load_b128 v[137:140], v[4:5], off offset:16
	global_load_b128 v[141:144], v[4:5], off offset:32
	v_add_f64_e64 v[15:16], v[87:88], -v[15:16]
	s_wait_loadcnt 0x2
	v_mul_f64_e32 v[7:8], v[97:98], v[135:136]
	s_wait_loadcnt 0x0
	v_mul_f64_e32 v[4:5], v[103:104], v[143:144]
	s_delay_alu instid0(VALU_DEP_2) | instskip(SKIP_1) | instid1(VALU_DEP_1)
	v_fma_f64 v[89:90], v[95:96], v[133:134], -v[7:8]
	v_mul_f64_e32 v[7:8], v[95:96], v[135:136]
	v_fma_f64 v[91:92], v[97:98], v[133:134], v[7:8]
	ds_load_b128 v[97:100], v254 offset:2816
	s_wait_dscnt 0x0
	v_mul_f64_e32 v[7:8], v[99:100], v[139:140]
	s_delay_alu instid0(VALU_DEP_1) | instskip(SKIP_1) | instid1(VALU_DEP_1)
	v_fma_f64 v[95:96], v[97:98], v[137:138], -v[7:8]
	v_mul_f64_e32 v[7:8], v[97:98], v[139:140]
	v_fma_f64 v[97:98], v[99:100], v[137:138], v[7:8]
	v_fma_f64 v[99:100], v[101:102], v[141:142], -v[4:5]
	v_mul_f64_e32 v[4:5], v[101:102], v[143:144]
	s_delay_alu instid0(VALU_DEP_1) | instskip(SKIP_3) | instid1(VALU_DEP_1)
	v_fma_f64 v[101:102], v[103:104], v[141:142], v[4:5]
	v_mad_co_u64_u32 v[4:5], null, s6, v93, 0
	scratch_store_b64 off, v[4:5], off offset:328 ; 8-byte Folded Spill
	v_mov_b32_e32 v4, v5
	v_mad_co_u64_u32 v[4:5], null, s7, v93, v[4:5]
	v_or_b32_e32 v93, 32, v174
	s_add_nc_u64 s[6:7], s[8:9], 0x1400
	scratch_store_b64 off, v[4:5], off offset:320 ; 8-byte Folded Spill
	v_mul_lo_u16 v4, v93, 26
	s_delay_alu instid0(VALU_DEP_1) | instskip(NEXT) | instid1(VALU_DEP_1)
	v_lshrrev_b16 v4, 8, v4
	v_mul_lo_u16 v5, v4, 10
	v_and_b32_e32 v4, 0xffff, v4
	s_delay_alu instid0(VALU_DEP_2) | instskip(NEXT) | instid1(VALU_DEP_2)
	v_sub_nc_u16 v5, v93, v5
	v_mul_u32_u24_e32 v4, 40, v4
	s_delay_alu instid0(VALU_DEP_2) | instskip(NEXT) | instid1(VALU_DEP_1)
	v_and_b32_e32 v5, 0xff, v5
	v_mad_co_u64_u32 v[7:8], null, v5, 48, s[10:11]
	s_delay_alu instid0(VALU_DEP_3)
	v_add_nc_u32_e32 v4, v4, v5
	s_clause 0x2
	global_load_b128 v[145:148], v[7:8], off
	global_load_b128 v[149:152], v[7:8], off offset:16
	global_load_b128 v[153:156], v[7:8], off offset:32
	s_wait_loadcnt 0x2
	v_mul_f64_e32 v[17:18], v[107:108], v[147:148]
	s_delay_alu instid0(VALU_DEP_1) | instskip(SKIP_1) | instid1(VALU_DEP_1)
	v_fma_f64 v[103:104], v[105:106], v[145:146], -v[17:18]
	v_mul_f64_e32 v[17:18], v[105:106], v[147:148]
	v_fma_f64 v[105:106], v[107:108], v[145:146], v[17:18]
	ds_load_b128 v[107:110], v254 offset:3072
	s_wait_loadcnt_dscnt 0x100
	v_mul_f64_e32 v[17:18], v[109:110], v[151:152]
	s_delay_alu instid0(VALU_DEP_1) | instskip(SKIP_1) | instid1(VALU_DEP_1)
	v_fma_f64 v[115:116], v[107:108], v[149:150], -v[17:18]
	v_mul_f64_e32 v[17:18], v[107:108], v[151:152]
	v_fma_f64 v[117:118], v[109:110], v[149:150], v[17:18]
	ds_load_b128 v[107:110], v254 offset:4352
	s_wait_loadcnt_dscnt 0x0
	v_mul_f64_e32 v[7:8], v[109:110], v[155:156]
	s_delay_alu instid0(VALU_DEP_1) | instskip(SKIP_1) | instid1(VALU_DEP_1)
	v_fma_f64 v[119:120], v[107:108], v[153:154], -v[7:8]
	v_mul_f64_e32 v[7:8], v[107:108], v[155:156]
	v_fma_f64 v[125:126], v[109:110], v[153:154], v[7:8]
	v_or_b32_e32 v7, 48, v19
	ds_load_b128 v[109:112], v254 offset:2048
	v_mul_lo_u16 v8, v7, 26
	s_delay_alu instid0(VALU_DEP_1) | instskip(NEXT) | instid1(VALU_DEP_1)
	v_lshrrev_b16 v8, 8, v8
	v_mul_lo_u16 v9, v8, 10
	s_delay_alu instid0(VALU_DEP_1) | instskip(NEXT) | instid1(VALU_DEP_1)
	v_sub_nc_u16 v7, v7, v9
	v_and_b32_e32 v195, 0xff, v7
	v_or_b32_e32 v7, 64, v174
	ds_load_b128 v[173:176], v254 offset:2304
	v_mad_co_u64_u32 v[17:18], null, v195, 48, s[10:11]
	v_mul_lo_u16 v9, 0x67, v7
	s_delay_alu instid0(VALU_DEP_1)
	v_lshrrev_b16 v196, 10, v9
	s_clause 0x2
	global_load_b128 v[157:160], v[17:18], off
	global_load_b128 v[165:168], v[17:18], off offset:16
	global_load_b128 v[161:164], v[17:18], off offset:32
	v_mul_lo_u16 v9, v196, 10
	s_delay_alu instid0(VALU_DEP_1) | instskip(NEXT) | instid1(VALU_DEP_1)
	v_sub_nc_u16 v7, v7, v9
	v_and_b32_e32 v197, 0xff, v7
	s_wait_alu 0xfffd
	v_cndmask_b32_e64 v7, 0, 40, vcc_lo
	v_cmp_gt_u64_e32 vcc_lo, 40, v[93:94]
	s_delay_alu instid0(VALU_DEP_2) | instskip(NEXT) | instid1(VALU_DEP_1)
	v_add_nc_u32_e32 v6, v6, v7
	v_add_lshl_u32 v249, v241, v6, 4
	v_fma_f64 v[6:7], v[87:88], 2.0, -v[15:16]
	s_wait_loadcnt_dscnt 0x201
	v_mul_f64_e32 v[19:20], v[111:112], v[159:160]
	s_delay_alu instid0(VALU_DEP_1) | instskip(SKIP_1) | instid1(VALU_DEP_1)
	v_fma_f64 v[107:108], v[109:110], v[157:158], -v[19:20]
	v_mul_f64_e32 v[19:20], v[109:110], v[159:160]
	v_fma_f64 v[109:110], v[111:112], v[157:158], v[19:20]
	ds_load_b128 v[111:114], v254 offset:3328
	s_wait_loadcnt_dscnt 0x100
	v_mul_f64_e32 v[19:20], v[113:114], v[167:168]
	s_delay_alu instid0(VALU_DEP_1) | instskip(SKIP_1) | instid1(VALU_DEP_1)
	v_fma_f64 v[127:128], v[111:112], v[165:166], -v[19:20]
	v_mul_f64_e32 v[19:20], v[111:112], v[167:168]
	v_fma_f64 v[181:182], v[113:114], v[165:166], v[19:20]
	ds_load_b128 v[111:114], v254 offset:4608
	s_wait_loadcnt_dscnt 0x0
	v_mul_f64_e32 v[17:18], v[113:114], v[163:164]
	s_delay_alu instid0(VALU_DEP_1) | instskip(SKIP_1) | instid1(VALU_DEP_1)
	v_fma_f64 v[185:186], v[111:112], v[161:162], -v[17:18]
	v_mul_f64_e32 v[17:18], v[111:112], v[163:164]
	v_fma_f64 v[189:190], v[113:114], v[161:162], v[17:18]
	v_mad_co_u64_u32 v[17:18], null, v197, 48, s[10:11]
	global_load_b128 v[169:172], v[17:18], off
	s_wait_loadcnt 0x0
	v_mul_f64_e32 v[19:20], v[175:176], v[171:172]
	s_delay_alu instid0(VALU_DEP_1) | instskip(SKIP_1) | instid1(VALU_DEP_1)
	v_fma_f64 v[111:112], v[173:174], v[169:170], -v[19:20]
	v_mul_f64_e32 v[19:20], v[173:174], v[171:172]
	v_fma_f64 v[113:114], v[175:176], v[169:170], v[19:20]
	global_load_b128 v[173:176], v[17:18], off offset:16
	s_wait_loadcnt 0x0
	v_mul_f64_e32 v[19:20], v[179:180], v[175:176]
	s_delay_alu instid0(VALU_DEP_1) | instskip(SKIP_1) | instid1(VALU_DEP_1)
	v_fma_f64 v[183:184], v[177:178], v[173:174], -v[19:20]
	v_mul_f64_e32 v[19:20], v[177:178], v[175:176]
	v_fma_f64 v[187:188], v[179:180], v[173:174], v[19:20]
	global_load_b128 v[177:180], v[17:18], off offset:32
	s_wait_loadcnt 0x0
	v_mul_f64_e32 v[17:18], v[200:201], v[179:180]
	s_delay_alu instid0(VALU_DEP_1) | instskip(SKIP_1) | instid1(VALU_DEP_1)
	v_fma_f64 v[191:192], v[198:199], v[177:178], -v[17:18]
	v_mul_f64_e32 v[17:18], v[198:199], v[179:180]
	v_fma_f64 v[193:194], v[200:201], v[177:178], v[17:18]
	ds_load_b128 v[198:201], v254
	ds_load_b128 v[206:209], v254 offset:1024
	ds_load_b128 v[210:213], v254 offset:256
	;; [unrolled: 1-line block ×4, first 2 shown]
	global_wb scope:SCOPE_SE
	s_wait_storecnt_dscnt 0x0
	s_barrier_signal -1
	s_barrier_wait -1
	global_inv scope:SCOPE_SE
	v_add_f64_e64 v[10:11], v[198:199], -v[10:11]
	v_add_f64_e64 v[13:14], v[200:201], -v[13:14]
	s_delay_alu instid0(VALU_DEP_2) | instskip(NEXT) | instid1(VALU_DEP_2)
	v_fma_f64 v[17:18], v[198:199], 2.0, -v[10:11]
	v_fma_f64 v[19:20], v[200:201], 2.0, -v[13:14]
	v_add_f64_e32 v[200:201], v[13:14], v[0:1]
	v_fma_f64 v[0:1], v[85:86], 2.0, -v[0:1]
	v_add_f64_e64 v[198:199], v[10:11], -v[15:16]
	v_add_f64_e64 v[15:16], v[89:90], -v[99:100]
	;; [unrolled: 1-line block ×5, first 2 shown]
	v_fma_f64 v[202:203], v[10:11], 2.0, -v[198:199]
	ds_store_b128 v249, v[198:201] offset:480
	v_add_f64_e64 v[0:1], v[210:211], -v[95:96]
	v_fma_f64 v[204:205], v[13:14], 2.0, -v[200:201]
	v_fma_f64 v[200:201], v[19:20], 2.0, -v[87:88]
	;; [unrolled: 1-line block ×4, first 2 shown]
	v_add_f64_e64 v[17:18], v[91:92], -v[101:102]
	v_fma_f64 v[19:20], v[89:90], 2.0, -v[15:16]
	v_fma_f64 v[10:11], v[210:211], 2.0, -v[0:1]
	ds_store_b128 v249, v[85:88] offset:320
	ds_store_b128 v249, v[202:205] offset:160
	ds_store_b128 v249, v[198:201]
	v_fma_f64 v[21:22], v[91:92], 2.0, -v[17:18]
	v_add_f64_e64 v[85:86], v[10:11], -v[19:20]
	s_delay_alu instid0(VALU_DEP_2) | instskip(NEXT) | instid1(VALU_DEP_2)
	v_add_f64_e64 v[87:88], v[13:14], -v[21:22]
	v_fma_f64 v[89:90], v[10:11], 2.0, -v[85:86]
	v_add_lshl_u32 v11, v241, v2, 4
	v_add_f64_e64 v[2:3], v[216:217], -v[117:118]
	v_add_lshl_u32 v10, v241, v4, 4
	v_fma_f64 v[91:92], v[13:14], 2.0, -v[87:88]
	s_delay_alu instid0(VALU_DEP_3)
	v_fma_f64 v[13:14], v[216:217], 2.0, -v[2:3]
	ds_store_b128 v11, v[89:92]
	v_add_f64_e64 v[89:90], v[0:1], -v[17:18]
	v_add_f64_e32 v[91:92], v[6:7], v[15:16]
	v_add_f64_e64 v[15:16], v[103:104], -v[119:120]
	v_add_f64_e64 v[17:18], v[105:106], -v[125:126]
	s_delay_alu instid0(VALU_DEP_4)
	v_fma_f64 v[95:96], v[0:1], 2.0, -v[89:90]
	v_add_f64_e64 v[0:1], v[214:215], -v[115:116]
	v_fma_f64 v[97:98], v[6:7], 2.0, -v[91:92]
	v_fma_f64 v[19:20], v[103:104], 2.0, -v[15:16]
	;; [unrolled: 1-line block ×3, first 2 shown]
	ds_store_b128 v11, v[95:98] offset:160
	ds_store_b128 v11, v[85:88] offset:320
	;; [unrolled: 1-line block ×3, first 2 shown]
	v_fma_f64 v[6:7], v[214:215], 2.0, -v[0:1]
	v_add_f64_e64 v[87:88], v[13:14], -v[21:22]
	s_delay_alu instid0(VALU_DEP_2) | instskip(NEXT) | instid1(VALU_DEP_2)
	v_add_f64_e64 v[85:86], v[6:7], -v[19:20]
	v_fma_f64 v[91:92], v[13:14], 2.0, -v[87:88]
	v_add_f64_e64 v[13:14], v[107:108], -v[185:186]
	s_delay_alu instid0(VALU_DEP_3)
	v_fma_f64 v[89:90], v[6:7], 2.0, -v[85:86]
	ds_store_b128 v10, v[89:92]
	v_add_f64_e64 v[89:90], v[0:1], -v[17:18]
	v_add_f64_e32 v[91:92], v[2:3], v[15:16]
	v_add_f64_e64 v[15:16], v[109:110], -v[189:190]
	v_fma_f64 v[17:18], v[107:108], 2.0, -v[13:14]
	s_delay_alu instid0(VALU_DEP_4) | instskip(NEXT) | instid1(VALU_DEP_4)
	v_fma_f64 v[95:96], v[0:1], 2.0, -v[89:90]
	v_fma_f64 v[97:98], v[2:3], 2.0, -v[91:92]
	v_add_f64_e64 v[0:1], v[218:219], -v[127:128]
	v_add_f64_e64 v[2:3], v[220:221], -v[181:182]
	v_fma_f64 v[19:20], v[109:110], 2.0, -v[15:16]
	ds_store_b128 v10, v[95:98] offset:160
	ds_store_b128 v10, v[85:88] offset:320
	;; [unrolled: 1-line block ×3, first 2 shown]
	v_fma_f64 v[4:5], v[218:219], 2.0, -v[0:1]
	v_fma_f64 v[6:7], v[220:221], 2.0, -v[2:3]
	s_delay_alu instid0(VALU_DEP_2) | instskip(NEXT) | instid1(VALU_DEP_2)
	v_add_f64_e64 v[85:86], v[4:5], -v[17:18]
	v_add_f64_e64 v[87:88], v[6:7], -v[19:20]
	s_delay_alu instid0(VALU_DEP_2) | instskip(NEXT) | instid1(VALU_DEP_2)
	v_fma_f64 v[89:90], v[4:5], 2.0, -v[85:86]
	v_fma_f64 v[91:92], v[6:7], 2.0, -v[87:88]
	v_and_b32_e32 v4, 0xffff, v8
	v_mov_b32_e32 v8, v23
	s_delay_alu instid0(VALU_DEP_2) | instskip(NEXT) | instid1(VALU_DEP_1)
	v_mul_u32_u24_e32 v4, 40, v4
	v_add_nc_u32_e32 v4, v4, v195
	s_delay_alu instid0(VALU_DEP_1)
	v_add_lshl_u32 v250, v241, v4, 4
	ds_store_b128 v250, v[89:92]
	v_add_f64_e64 v[89:90], v[0:1], -v[15:16]
	v_add_f64_e32 v[91:92], v[2:3], v[13:14]
	v_add_f64_e64 v[13:14], v[111:112], -v[191:192]
	v_add_f64_e64 v[15:16], v[113:114], -v[193:194]
	s_delay_alu instid0(VALU_DEP_4) | instskip(NEXT) | instid1(VALU_DEP_4)
	v_fma_f64 v[95:96], v[0:1], 2.0, -v[89:90]
	v_fma_f64 v[97:98], v[2:3], 2.0, -v[91:92]
	v_add_f64_e64 v[0:1], v[206:207], -v[183:184]
	v_add_f64_e64 v[2:3], v[208:209], -v[187:188]
	v_fma_f64 v[17:18], v[111:112], 2.0, -v[13:14]
	v_fma_f64 v[19:20], v[113:114], 2.0, -v[15:16]
	ds_store_b128 v250, v[95:98] offset:160
	ds_store_b128 v250, v[85:88] offset:320
	;; [unrolled: 1-line block ×3, first 2 shown]
	v_fma_f64 v[4:5], v[206:207], 2.0, -v[0:1]
	v_fma_f64 v[6:7], v[208:209], 2.0, -v[2:3]
	s_delay_alu instid0(VALU_DEP_2) | instskip(NEXT) | instid1(VALU_DEP_2)
	v_add_f64_e64 v[85:86], v[4:5], -v[17:18]
	v_add_f64_e64 v[87:88], v[6:7], -v[19:20]
	s_delay_alu instid0(VALU_DEP_2) | instskip(NEXT) | instid1(VALU_DEP_2)
	v_fma_f64 v[89:90], v[4:5], 2.0, -v[85:86]
	v_fma_f64 v[91:92], v[6:7], 2.0, -v[87:88]
	v_and_b32_e32 v4, 0xffff, v196
	s_delay_alu instid0(VALU_DEP_1) | instskip(NEXT) | instid1(VALU_DEP_1)
	v_mul_u32_u24_e32 v4, 40, v4
	v_add_nc_u32_e32 v4, v4, v197
	s_delay_alu instid0(VALU_DEP_1) | instskip(SKIP_3) | instid1(VALU_DEP_2)
	v_add_lshl_u32 v80, v241, v4, 4
	ds_store_b128 v80, v[89:92]
	v_add_f64_e64 v[89:90], v[0:1], -v[15:16]
	v_add_f64_e32 v[91:92], v[2:3], v[13:14]
	v_fma_f64 v[95:96], v[0:1], 2.0, -v[89:90]
	s_delay_alu instid0(VALU_DEP_2)
	v_fma_f64 v[97:98], v[2:3], 2.0, -v[91:92]
	v_mad_co_u64_u32 v[0:1], null, v8, 48, s[10:11]
	ds_store_b128 v80, v[95:98] offset:160
	ds_store_b128 v80, v[85:88] offset:320
	;; [unrolled: 1-line block ×3, first 2 shown]
	global_wb scope:SCOPE_SE
	s_wait_dscnt 0x0
	s_barrier_signal -1
	s_barrier_wait -1
	global_inv scope:SCOPE_SE
	s_clause 0x7
	global_load_b128 v[181:184], v[0:1], off offset:480
	global_load_b128 v[193:196], v[0:1], off offset:496
	;; [unrolled: 1-line block ×8, first 2 shown]
	ds_load_b128 v[85:88], v254 offset:1280
	scratch_store_b32 off, v8, off offset:336 ; 4-byte Folded Spill
	v_add_nc_u32_e32 v8, -8, v8
	s_clause 0x3
	global_load_b128 v[209:212], v[0:1], off offset:880
	global_load_b128 v[213:216], v[0:1], off offset:896
	global_load_b128 v[237:240], v[0:1], off offset:1648
	global_load_b128 v[233:236], v[0:1], off offset:1664
	s_wait_alu 0xfffd
	v_cndmask_b32_e32 v8, v8, v93, vcc_lo
	s_delay_alu instid0(VALU_DEP_1) | instskip(SKIP_1) | instid1(VALU_DEP_2)
	v_mul_i32_i24_e32 v9, 48, v8
	v_mul_hi_i32_i24_e32 v32, 48, v8
	v_add_co_u32 v31, vcc_lo, s10, v9
	s_wait_alu 0xfffd
	s_delay_alu instid0(VALU_DEP_2)
	v_add_co_ci_u32_e32 v32, vcc_lo, s11, v32, vcc_lo
	v_cmp_lt_u64_e32 vcc_lo, 39, v[93:94]
	s_clause 0x2
	global_load_b128 v[225:228], v[31:32], off offset:480
	global_load_b128 v[205:208], v[31:32], off offset:496
	;; [unrolled: 1-line block ×3, first 2 shown]
	s_wait_loadcnt_dscnt 0xe00
	v_mul_f64_e32 v[2:3], v[87:88], v[183:184]
	v_mul_f64_e32 v[4:5], v[85:86], v[183:184]
	s_delay_alu instid0(VALU_DEP_2) | instskip(NEXT) | instid1(VALU_DEP_2)
	v_fma_f64 v[2:3], v[85:86], v[181:182], -v[2:3]
	v_fma_f64 v[4:5], v[87:88], v[181:182], v[4:5]
	ds_load_b128 v[85:88], v254 offset:2560
	s_wait_loadcnt_dscnt 0xd00
	v_mul_f64_e32 v[6:7], v[87:88], v[195:196]
	v_mul_f64_e32 v[13:14], v[85:86], v[195:196]
	s_delay_alu instid0(VALU_DEP_2) | instskip(NEXT) | instid1(VALU_DEP_2)
	v_fma_f64 v[6:7], v[85:86], v[193:194], -v[6:7]
	v_fma_f64 v[13:14], v[87:88], v[193:194], v[13:14]
	ds_load_b128 v[85:88], v254 offset:3840
	;; [unrolled: 7-line block ×3, first 2 shown]
	s_wait_loadcnt_dscnt 0xa00
	v_mul_f64_e32 v[19:20], v[87:88], v[191:192]
	v_mul_f64_e32 v[21:22], v[85:86], v[191:192]
	v_add_f64_e64 v[15:16], v[2:3], -v[15:16]
	v_add_f64_e64 v[17:18], v[4:5], -v[17:18]
	s_delay_alu instid0(VALU_DEP_4) | instskip(NEXT) | instid1(VALU_DEP_4)
	v_fma_f64 v[19:20], v[85:86], v[189:190], -v[19:20]
	v_fma_f64 v[21:22], v[87:88], v[189:190], v[21:22]
	ds_load_b128 v[85:88], v254 offset:2816
	v_fma_f64 v[2:3], v[2:3], 2.0, -v[15:16]
	v_fma_f64 v[4:5], v[4:5], 2.0, -v[17:18]
	s_wait_loadcnt_dscnt 0x900
	v_mul_f64_e32 v[23:24], v[87:88], v[231:232]
	v_mul_f64_e32 v[25:26], v[85:86], v[231:232]
	s_delay_alu instid0(VALU_DEP_2) | instskip(NEXT) | instid1(VALU_DEP_2)
	v_fma_f64 v[23:24], v[85:86], v[229:230], -v[23:24]
	v_fma_f64 v[25:26], v[87:88], v[229:230], v[25:26]
	ds_load_b128 v[85:88], v254 offset:4096
	s_wait_loadcnt_dscnt 0x800
	v_mul_f64_e32 v[27:28], v[87:88], v[219:220]
	v_mul_f64_e32 v[29:30], v[85:86], v[219:220]
	s_delay_alu instid0(VALU_DEP_2) | instskip(NEXT) | instid1(VALU_DEP_2)
	v_fma_f64 v[27:28], v[85:86], v[217:218], -v[27:28]
	v_fma_f64 v[29:30], v[87:88], v[217:218], v[29:30]
	ds_load_b128 v[85:88], v254 offset:1792
	s_wait_loadcnt_dscnt 0x200
	v_mul_f64_e32 v[33:34], v[87:88], v[227:228]
	v_mul_f64_e32 v[35:36], v[85:86], v[227:228]
	v_add_f64_e64 v[27:28], v[19:20], -v[27:28]
	v_add_f64_e64 v[29:30], v[21:22], -v[29:30]
	s_delay_alu instid0(VALU_DEP_4) | instskip(NEXT) | instid1(VALU_DEP_4)
	v_fma_f64 v[33:34], v[85:86], v[225:226], -v[33:34]
	v_fma_f64 v[35:36], v[87:88], v[225:226], v[35:36]
	ds_load_b128 v[85:88], v254 offset:3072
	s_wait_loadcnt_dscnt 0x100
	v_mul_f64_e32 v[37:38], v[87:88], v[207:208]
	v_mul_f64_e32 v[39:40], v[85:86], v[207:208]
	s_delay_alu instid0(VALU_DEP_2) | instskip(NEXT) | instid1(VALU_DEP_2)
	v_fma_f64 v[37:38], v[85:86], v[205:206], -v[37:38]
	v_fma_f64 v[39:40], v[87:88], v[205:206], v[39:40]
	ds_load_b128 v[85:88], v254 offset:4352
	s_wait_loadcnt_dscnt 0x0
	v_mul_f64_e32 v[31:32], v[87:88], v[199:200]
	v_mul_f64_e32 v[41:42], v[85:86], v[199:200]
	s_delay_alu instid0(VALU_DEP_2) | instskip(NEXT) | instid1(VALU_DEP_2)
	v_fma_f64 v[31:32], v[85:86], v[197:198], -v[31:32]
	v_fma_f64 v[41:42], v[87:88], v[197:198], v[41:42]
	ds_load_b128 v[85:88], v254 offset:2048
	s_wait_dscnt 0x0
	v_mul_f64_e32 v[43:44], v[87:88], v[203:204]
	v_mul_f64_e32 v[45:46], v[85:86], v[203:204]
	s_delay_alu instid0(VALU_DEP_2) | instskip(NEXT) | instid1(VALU_DEP_2)
	v_fma_f64 v[43:44], v[85:86], v[201:202], -v[43:44]
	v_fma_f64 v[45:46], v[87:88], v[201:202], v[45:46]
	ds_load_b128 v[85:88], v254 offset:3328
	s_wait_dscnt 0x0
	;; [unrolled: 7-line block ×6, first 2 shown]
	v_mul_f64_e32 v[0:1], v[87:88], v[235:236]
	v_mul_f64_e32 v[63:64], v[85:86], v[235:236]
	s_delay_alu instid0(VALU_DEP_2) | instskip(NEXT) | instid1(VALU_DEP_2)
	v_fma_f64 v[0:1], v[85:86], v[233:234], -v[0:1]
	v_fma_f64 v[63:64], v[87:88], v[233:234], v[63:64]
	ds_load_b128 v[85:88], v254
	ds_load_b128 v[95:98], v254 offset:256
	ds_load_b128 v[99:102], v254 offset:1024
	;; [unrolled: 1-line block ×4, first 2 shown]
	global_wb scope:SCOPE_SE
	s_wait_storecnt_dscnt 0x0
	s_barrier_signal -1
	s_barrier_wait -1
	global_inv scope:SCOPE_SE
	v_add_f64_e64 v[6:7], v[85:86], -v[6:7]
	v_add_f64_e64 v[13:14], v[87:88], -v[13:14]
	;; [unrolled: 1-line block ×3, first 2 shown]
	s_delay_alu instid0(VALU_DEP_3) | instskip(NEXT) | instid1(VALU_DEP_3)
	v_fma_f64 v[65:66], v[85:86], 2.0, -v[6:7]
	v_fma_f64 v[67:68], v[87:88], 2.0, -v[13:14]
	v_add_f64_e64 v[85:86], v[6:7], -v[17:18]
	v_add_f64_e32 v[87:88], v[13:14], v[15:16]
	v_add_f64_e64 v[15:16], v[33:34], -v[31:32]
	v_add_f64_e64 v[17:18], v[35:36], -v[41:42]
	s_delay_alu instid0(VALU_DEP_4) | instskip(NEXT) | instid1(VALU_DEP_4)
	v_fma_f64 v[89:90], v[6:7], 2.0, -v[85:86]
	v_fma_f64 v[91:92], v[13:14], 2.0, -v[87:88]
	v_add_f64_e64 v[6:7], v[95:96], -v[23:24]
	v_add_f64_e64 v[13:14], v[97:98], -v[25:26]
	ds_store_b128 v254, v[85:88] offset:1920
	v_add_f64_e64 v[85:86], v[6:7], -v[29:30]
	v_add_f64_e32 v[87:88], v[13:14], v[27:28]
	v_fma_f64 v[23:24], v[95:96], 2.0, -v[6:7]
	v_fma_f64 v[25:26], v[97:98], 2.0, -v[13:14]
	s_delay_alu instid0(VALU_DEP_4) | instskip(NEXT) | instid1(VALU_DEP_4)
	v_fma_f64 v[95:96], v[6:7], 2.0, -v[85:86]
	v_fma_f64 v[97:98], v[13:14], 2.0, -v[87:88]
	ds_store_b128 v254, v[85:88] offset:2176
	ds_store_b128 v254, v[89:92] offset:640
	;; [unrolled: 1-line block ×3, first 2 shown]
	v_add_f64_e64 v[85:86], v[65:66], -v[2:3]
	v_add_f64_e64 v[87:88], v[67:68], -v[4:5]
	v_fma_f64 v[2:3], v[19:20], 2.0, -v[27:28]
	v_fma_f64 v[4:5], v[21:22], 2.0, -v[29:30]
	;; [unrolled: 1-line block ×6, first 2 shown]
	ds_store_b128 v254, v[85:88] offset:1280
	v_add_f64_e64 v[85:86], v[23:24], -v[2:3]
	v_add_f64_e64 v[87:88], v[25:26], -v[4:5]
	;; [unrolled: 1-line block ×4, first 2 shown]
	s_delay_alu instid0(VALU_DEP_4) | instskip(NEXT) | instid1(VALU_DEP_4)
	v_fma_f64 v[95:96], v[23:24], 2.0, -v[85:86]
	v_fma_f64 v[97:98], v[25:26], 2.0, -v[87:88]
	s_delay_alu instid0(VALU_DEP_4) | instskip(NEXT) | instid1(VALU_DEP_4)
	v_fma_f64 v[6:7], v[103:104], 2.0, -v[2:3]
	v_fma_f64 v[13:14], v[105:106], 2.0, -v[4:5]
	ds_store_b128 v254, v[85:88] offset:1536
	ds_store_b128 v254, v[89:92]
	ds_store_b128 v254, v[95:98] offset:256
	v_add_f64_e64 v[23:24], v[57:58], -v[63:64]
	v_fma_f64 v[25:26], v[55:56], 2.0, -v[0:1]
	v_add_f64_e64 v[85:86], v[6:7], -v[19:20]
	v_add_f64_e64 v[87:88], v[13:14], -v[21:22]
	s_delay_alu instid0(VALU_DEP_4) | instskip(NEXT) | instid1(VALU_DEP_3)
	v_fma_f64 v[27:28], v[57:58], 2.0, -v[23:24]
	v_fma_f64 v[89:90], v[6:7], 2.0, -v[85:86]
	s_delay_alu instid0(VALU_DEP_3) | instskip(SKIP_2) | instid1(VALU_DEP_1)
	v_fma_f64 v[91:92], v[13:14], 2.0, -v[87:88]
	s_wait_alu 0xfffd
	v_cndmask_b32_e64 v6, 0, 0xa0, vcc_lo
	v_add_nc_u32_e32 v6, v6, v8
	s_delay_alu instid0(VALU_DEP_1)
	v_add_lshl_u32 v6, v241, v6, 4
	ds_store_b128 v6, v[89:92]
	v_add_f64_e64 v[89:90], v[2:3], -v[17:18]
	v_add_f64_e32 v[91:92], v[4:5], v[15:16]
	v_add_f64_e64 v[15:16], v[43:44], -v[51:52]
	v_add_f64_e64 v[17:18], v[45:46], -v[53:54]
	s_delay_alu instid0(VALU_DEP_4) | instskip(NEXT) | instid1(VALU_DEP_4)
	v_fma_f64 v[93:94], v[2:3], 2.0, -v[89:90]
	v_fma_f64 v[95:96], v[4:5], 2.0, -v[91:92]
	v_add_f64_e64 v[2:3], v[107:108], -v[47:48]
	v_add_f64_e64 v[4:5], v[109:110], -v[49:50]
	ds_store_b128 v6, v[93:96] offset:640
	ds_store_b128 v6, v[85:88] offset:1280
	scratch_store_b32 off, v6, off offset:340 ; 4-byte Folded Spill
	ds_store_b128 v6, v[89:92] offset:1920
	v_fma_f64 v[6:7], v[107:108], 2.0, -v[2:3]
	v_fma_f64 v[13:14], v[109:110], 2.0, -v[4:5]
	;; [unrolled: 1-line block ×4, first 2 shown]
	s_delay_alu instid0(VALU_DEP_2) | instskip(NEXT) | instid1(VALU_DEP_2)
	v_add_f64_e64 v[85:86], v[6:7], -v[19:20]
	v_add_f64_e64 v[87:88], v[13:14], -v[21:22]
	s_delay_alu instid0(VALU_DEP_2) | instskip(NEXT) | instid1(VALU_DEP_2)
	v_fma_f64 v[89:90], v[6:7], 2.0, -v[85:86]
	v_fma_f64 v[91:92], v[13:14], 2.0, -v[87:88]
	v_add_f64_e64 v[6:7], v[99:100], -v[59:60]
	v_add_f64_e64 v[13:14], v[101:102], -v[61:62]
	ds_store_b128 v254, v[89:92] offset:2688
	v_fma_f64 v[19:20], v[99:100], 2.0, -v[6:7]
	v_fma_f64 v[21:22], v[101:102], 2.0, -v[13:14]
	s_delay_alu instid0(VALU_DEP_2) | instskip(NEXT) | instid1(VALU_DEP_2)
	v_add_f64_e64 v[89:90], v[19:20], -v[25:26]
	v_add_f64_e64 v[91:92], v[21:22], -v[27:28]
	s_delay_alu instid0(VALU_DEP_2) | instskip(NEXT) | instid1(VALU_DEP_2)
	v_fma_f64 v[93:94], v[19:20], 2.0, -v[89:90]
	v_fma_f64 v[95:96], v[21:22], 2.0, -v[91:92]
	ds_store_b128 v254, v[93:96] offset:2944
	v_add_f64_e64 v[93:94], v[2:3], -v[17:18]
	v_add_f64_e32 v[95:96], v[4:5], v[15:16]
	s_delay_alu instid0(VALU_DEP_2) | instskip(NEXT) | instid1(VALU_DEP_2)
	v_fma_f64 v[97:98], v[2:3], 2.0, -v[93:94]
	v_fma_f64 v[99:100], v[4:5], 2.0, -v[95:96]
	ds_store_b128 v254, v[97:100] offset:3328
	v_add_f64_e64 v[97:98], v[6:7], -v[23:24]
	v_add_f64_e32 v[99:100], v[13:14], v[0:1]
	s_delay_alu instid0(VALU_DEP_2) | instskip(NEXT) | instid1(VALU_DEP_2)
	v_fma_f64 v[101:102], v[6:7], 2.0, -v[97:98]
	v_fma_f64 v[103:104], v[13:14], 2.0, -v[99:100]
	ds_store_b128 v254, v[101:104] offset:3584
	ds_store_b128 v254, v[85:88] offset:3968
	;; [unrolled: 1-line block ×5, first 2 shown]
	global_wb scope:SCOPE_SE
	s_wait_storecnt_dscnt 0x0
	s_barrier_signal -1
	s_barrier_wait -1
	global_inv scope:SCOPE_SE
	global_load_b128 v[85:88], v255, s[10:11] offset:2400
	ds_load_b128 v[89:92], v254 offset:2560
	ds_load_b128 v[93:96], v254 offset:2816
	;; [unrolled: 1-line block ×17, first 2 shown]
	s_wait_loadcnt_dscnt 0x10
	v_mul_f64_e32 v[0:1], v[91:92], v[87:88]
	v_mul_f64_e32 v[2:3], v[89:90], v[87:88]
	s_delay_alu instid0(VALU_DEP_2) | instskip(NEXT) | instid1(VALU_DEP_2)
	v_fma_f64 v[0:1], v[89:90], v[85:86], -v[0:1]
	v_fma_f64 v[2:3], v[91:92], v[85:86], v[2:3]
	global_load_b128 v[89:92], v255, s[10:11] offset:2656
	s_wait_loadcnt_dscnt 0xf
	v_mul_f64_e32 v[4:5], v[95:96], v[91:92]
	v_mul_f64_e32 v[6:7], v[93:94], v[91:92]
	s_delay_alu instid0(VALU_DEP_2) | instskip(NEXT) | instid1(VALU_DEP_2)
	v_fma_f64 v[4:5], v[93:94], v[89:90], -v[4:5]
	v_fma_f64 v[6:7], v[95:96], v[89:90], v[6:7]
	global_load_b128 v[93:96], v255, s[10:11] offset:2912
	s_wait_loadcnt_dscnt 0xe
	v_mul_f64_e32 v[13:14], v[99:100], v[95:96]
	s_delay_alu instid0(VALU_DEP_1) | instskip(SKIP_1) | instid1(VALU_DEP_1)
	v_fma_f64 v[17:18], v[97:98], v[93:94], -v[13:14]
	v_mul_f64_e32 v[13:14], v[97:98], v[95:96]
	v_fma_f64 v[19:20], v[99:100], v[93:94], v[13:14]
	global_load_b128 v[97:100], v255, s[10:11] offset:3168
	s_wait_loadcnt_dscnt 0xd
	v_mul_f64_e32 v[13:14], v[103:104], v[99:100]
	s_delay_alu instid0(VALU_DEP_1) | instskip(SKIP_2) | instid1(VALU_DEP_2)
	v_fma_f64 v[25:26], v[101:102], v[97:98], -v[13:14]
	v_mul_f64_e32 v[13:14], v[101:102], v[99:100]
	s_wait_dscnt 0x0
	v_add_f64_e64 v[25:26], v[21:22], -v[25:26]
	s_delay_alu instid0(VALU_DEP_2) | instskip(SKIP_3) | instid1(VALU_DEP_1)
	v_fma_f64 v[27:28], v[103:104], v[97:98], v[13:14]
	global_load_b128 v[101:104], v255, s[10:11] offset:3424
	v_fma_f64 v[21:22], v[21:22], 2.0, -v[25:26]
	v_add_f64_e64 v[27:28], v[23:24], -v[27:28]
	v_fma_f64 v[23:24], v[23:24], 2.0, -v[27:28]
	s_wait_loadcnt 0x0
	v_mul_f64_e32 v[13:14], v[107:108], v[103:104]
	s_delay_alu instid0(VALU_DEP_1) | instskip(SKIP_1) | instid1(VALU_DEP_2)
	v_fma_f64 v[33:34], v[105:106], v[101:102], -v[13:14]
	v_mul_f64_e32 v[13:14], v[105:106], v[103:104]
	v_add_f64_e64 v[33:34], v[29:30], -v[33:34]
	s_delay_alu instid0(VALU_DEP_2) | instskip(SKIP_3) | instid1(VALU_DEP_1)
	v_fma_f64 v[35:36], v[107:108], v[101:102], v[13:14]
	global_load_b128 v[105:108], v255, s[10:11] offset:3680
	v_fma_f64 v[29:30], v[29:30], 2.0, -v[33:34]
	v_add_f64_e64 v[35:36], v[31:32], -v[35:36]
	v_fma_f64 v[31:32], v[31:32], 2.0, -v[35:36]
	s_wait_loadcnt 0x0
	v_mul_f64_e32 v[13:14], v[111:112], v[107:108]
	s_delay_alu instid0(VALU_DEP_1) | instskip(SKIP_1) | instid1(VALU_DEP_2)
	v_fma_f64 v[41:42], v[109:110], v[105:106], -v[13:14]
	v_mul_f64_e32 v[13:14], v[109:110], v[107:108]
	;; [unrolled: 12-line block ×6, first 2 shown]
	v_add_f64_e64 v[73:74], v[69:70], -v[73:74]
	s_delay_alu instid0(VALU_DEP_2)
	v_fma_f64 v[75:76], v[243:244], v[125:126], v[13:14]
	ds_load_b128 v[241:244], v254
	ds_load_b128 v[13:16], v254 offset:512
	s_wait_dscnt 0x1
	v_add_f64_e64 v[245:246], v[241:242], -v[0:1]
	v_add_f64_e64 v[247:248], v[243:244], -v[2:3]
	ds_load_b128 v[0:3], v254 offset:256
	s_wait_dscnt 0x1
	v_add_f64_e64 v[17:18], v[13:14], -v[17:18]
	v_add_f64_e64 v[19:20], v[15:16], -v[19:20]
	v_fma_f64 v[69:70], v[69:70], 2.0, -v[73:74]
	v_add_f64_e64 v[75:76], v[71:72], -v[75:76]
	s_wait_dscnt 0x0
	v_add_f64_e64 v[4:5], v[0:1], -v[4:5]
	v_add_f64_e64 v[6:7], v[2:3], -v[6:7]
	v_fma_f64 v[241:242], v[241:242], 2.0, -v[245:246]
	v_fma_f64 v[243:244], v[243:244], 2.0, -v[247:248]
	;; [unrolled: 1-line block ×7, first 2 shown]
	ds_store_b128 v254, v[241:244]
	ds_store_b128 v253, v[245:248] offset:2560
	ds_store_b128 v254, v[0:3] offset:256
	ds_store_b128 v253, v[4:7] offset:2816
	ds_store_b128 v254, v[13:16] offset:512
	ds_store_b128 v253, v[17:20] offset:3072
	ds_store_b128 v254, v[21:24] offset:768
	ds_store_b128 v253, v[25:28] offset:3328
	ds_store_b128 v253, v[33:36] offset:3584
	ds_store_b128 v253, v[29:32] offset:1024
	ds_store_b128 v253, v[37:40] offset:1280
	ds_store_b128 v253, v[41:44] offset:3840
	ds_store_b128 v253, v[49:52] offset:4096
	ds_store_b128 v253, v[45:48] offset:1536
	ds_store_b128 v253, v[53:56] offset:1792
	ds_store_b128 v253, v[57:60] offset:4352
	ds_store_b128 v253, v[65:68] offset:4608
	ds_store_b128 v253, v[61:64] offset:2048
	ds_store_b128 v253, v[69:72] offset:2304
	ds_store_b128 v253, v[73:76] offset:4864
	global_wb scope:SCOPE_SE
	s_wait_dscnt 0x0
	s_barrier_signal -1
	s_barrier_wait -1
	global_inv scope:SCOPE_SE
	s_clause 0x1
	global_load_b128 v[241:244], v255, s[8:9] offset:5120
	global_load_b128 v[4:7], v255, s[6:7] offset:512
	ds_load_b128 v[245:248], v254
	ds_load_b128 v[13:16], v254 offset:512
	s_wait_loadcnt_dscnt 0x101
	v_mul_f64_e32 v[0:1], v[247:248], v[243:244]
	s_wait_loadcnt_dscnt 0x0
	v_mul_f64_e32 v[17:18], v[15:16], v[6:7]
	v_mul_f64_e32 v[6:7], v[13:14], v[6:7]
	;; [unrolled: 1-line block ×3, first 2 shown]
	s_delay_alu instid0(VALU_DEP_4) | instskip(NEXT) | instid1(VALU_DEP_4)
	v_fma_f64 v[0:1], v[245:246], v[241:242], -v[0:1]
	v_fma_f64 v[13:14], v[13:14], v[4:5], -v[17:18]
	s_delay_alu instid0(VALU_DEP_4)
	v_fma_f64 v[15:16], v[15:16], v[4:5], v[6:7]
	global_load_b128 v[4:7], v255, s[6:7] offset:1024
	ds_load_b128 v[17:20], v254 offset:1024
	v_fma_f64 v[2:3], v[247:248], v[241:242], v[2:3]
	s_wait_loadcnt_dscnt 0x0
	v_mul_f64_e32 v[21:22], v[19:20], v[6:7]
	v_mul_f64_e32 v[6:7], v[17:18], v[6:7]
	s_delay_alu instid0(VALU_DEP_2) | instskip(NEXT) | instid1(VALU_DEP_2)
	v_fma_f64 v[17:18], v[17:18], v[4:5], -v[21:22]
	v_fma_f64 v[19:20], v[19:20], v[4:5], v[6:7]
	global_load_b128 v[4:7], v255, s[6:7] offset:1536
	ds_load_b128 v[21:24], v254 offset:1536
	s_wait_loadcnt_dscnt 0x0
	v_mul_f64_e32 v[25:26], v[23:24], v[6:7]
	v_mul_f64_e32 v[6:7], v[21:22], v[6:7]
	s_delay_alu instid0(VALU_DEP_2) | instskip(NEXT) | instid1(VALU_DEP_2)
	v_fma_f64 v[21:22], v[21:22], v[4:5], -v[25:26]
	v_fma_f64 v[23:24], v[23:24], v[4:5], v[6:7]
	global_load_b128 v[4:7], v255, s[6:7] offset:2048
	ds_load_b128 v[25:28], v254 offset:2048
	;; [unrolled: 8-line block ×3, first 2 shown]
	s_wait_loadcnt_dscnt 0x0
	v_mul_f64_e32 v[33:34], v[31:32], v[6:7]
	v_mul_f64_e32 v[6:7], v[29:30], v[6:7]
	s_delay_alu instid0(VALU_DEP_2) | instskip(NEXT) | instid1(VALU_DEP_2)
	v_fma_f64 v[29:30], v[29:30], v[4:5], -v[33:34]
	v_fma_f64 v[31:32], v[31:32], v[4:5], v[6:7]
	ds_store_b128 v254, v[0:3]
	ds_store_b128 v254, v[13:16] offset:512
	ds_store_b128 v254, v[17:20] offset:1024
	ds_store_b128 v254, v[21:24] offset:1536
	ds_store_b128 v254, v[25:28] offset:2048
	ds_store_b128 v254, v[29:32] offset:2560
	global_load_b128 v[0:3], v255, s[6:7] offset:3072
	ds_load_b128 v[4:7], v253 offset:3072
	ds_load_b128 v[17:20], v253 offset:3584
	;; [unrolled: 1-line block ×4, first 2 shown]
	s_wait_loadcnt_dscnt 0x3
	v_mul_f64_e32 v[13:14], v[6:7], v[2:3]
	v_mul_f64_e32 v[15:16], v[4:5], v[2:3]
	s_delay_alu instid0(VALU_DEP_2) | instskip(NEXT) | instid1(VALU_DEP_2)
	v_fma_f64 v[2:3], v[4:5], v[0:1], -v[13:14]
	v_fma_f64 v[4:5], v[6:7], v[0:1], v[15:16]
	global_load_b128 v[13:16], v255, s[6:7] offset:3584
	s_wait_loadcnt_dscnt 0x2
	v_mul_f64_e32 v[0:1], v[19:20], v[15:16]
	v_mul_f64_e32 v[6:7], v[17:18], v[15:16]
	s_delay_alu instid0(VALU_DEP_2) | instskip(NEXT) | instid1(VALU_DEP_2)
	v_fma_f64 v[15:16], v[17:18], v[13:14], -v[0:1]
	v_fma_f64 v[17:18], v[19:20], v[13:14], v[6:7]
	global_load_b128 v[19:22], v255, s[6:7] offset:4096
	;; [unrolled: 7-line block ×3, first 2 shown]
	s_wait_loadcnt_dscnt 0x0
	v_mul_f64_e32 v[0:1], v[31:32], v[27:28]
	v_mul_f64_e32 v[6:7], v[29:30], v[27:28]
	s_delay_alu instid0(VALU_DEP_2) | instskip(NEXT) | instid1(VALU_DEP_2)
	v_fma_f64 v[27:28], v[29:30], v[25:26], -v[0:1]
	v_fma_f64 v[29:30], v[31:32], v[25:26], v[6:7]
	ds_store_b128 v253, v[2:5] offset:3072
	ds_store_b128 v253, v[15:18] offset:3584
	;; [unrolled: 1-line block ×4, first 2 shown]
	global_load_b128 v[0:3], v255, s[6:7] offset:256
	ds_load_b128 v[4:7], v254 offset:256
	ds_load_b128 v[17:20], v254 offset:768
	s_wait_loadcnt_dscnt 0x1
	v_mul_f64_e32 v[13:14], v[6:7], v[2:3]
	v_mul_f64_e32 v[15:16], v[4:5], v[2:3]
	s_delay_alu instid0(VALU_DEP_2) | instskip(NEXT) | instid1(VALU_DEP_2)
	v_fma_f64 v[2:3], v[4:5], v[0:1], -v[13:14]
	v_fma_f64 v[4:5], v[6:7], v[0:1], v[15:16]
	global_load_b128 v[13:16], v255, s[6:7] offset:768
	s_wait_loadcnt_dscnt 0x0
	v_mul_f64_e32 v[0:1], v[19:20], v[15:16]
	v_mul_f64_e32 v[6:7], v[17:18], v[15:16]
	s_delay_alu instid0(VALU_DEP_2) | instskip(NEXT) | instid1(VALU_DEP_2)
	v_fma_f64 v[15:16], v[17:18], v[13:14], -v[0:1]
	v_fma_f64 v[17:18], v[19:20], v[13:14], v[6:7]
	ds_store_b128 v254, v[2:5] offset:256
	ds_store_b128 v254, v[15:18] offset:768
	global_load_b128 v[0:3], v255, s[6:7] offset:1280
	ds_load_b128 v[4:7], v253 offset:1280
	ds_load_b128 v[17:20], v253 offset:1792
	;; [unrolled: 1-line block ×3, first 2 shown]
	s_wait_loadcnt_dscnt 0x2
	v_mul_f64_e32 v[13:14], v[6:7], v[2:3]
	v_mul_f64_e32 v[15:16], v[4:5], v[2:3]
	s_delay_alu instid0(VALU_DEP_2) | instskip(NEXT) | instid1(VALU_DEP_2)
	v_fma_f64 v[2:3], v[4:5], v[0:1], -v[13:14]
	v_fma_f64 v[4:5], v[6:7], v[0:1], v[15:16]
	global_load_b128 v[13:16], v255, s[6:7] offset:1792
	s_wait_loadcnt_dscnt 0x1
	v_mul_f64_e32 v[0:1], v[19:20], v[15:16]
	v_mul_f64_e32 v[6:7], v[17:18], v[15:16]
	s_delay_alu instid0(VALU_DEP_2) | instskip(NEXT) | instid1(VALU_DEP_2)
	v_fma_f64 v[15:16], v[17:18], v[13:14], -v[0:1]
	v_fma_f64 v[17:18], v[19:20], v[13:14], v[6:7]
	global_load_b128 v[19:22], v255, s[6:7] offset:2304
	s_wait_loadcnt_dscnt 0x0
	v_mul_f64_e32 v[0:1], v[25:26], v[21:22]
	v_mul_f64_e32 v[6:7], v[23:24], v[21:22]
	s_delay_alu instid0(VALU_DEP_2) | instskip(NEXT) | instid1(VALU_DEP_2)
	v_fma_f64 v[21:22], v[23:24], v[19:20], -v[0:1]
	v_fma_f64 v[23:24], v[25:26], v[19:20], v[6:7]
	ds_store_b128 v253, v[2:5] offset:1280
	ds_store_b128 v253, v[15:18] offset:1792
	;; [unrolled: 1-line block ×3, first 2 shown]
	global_load_b128 v[0:3], v255, s[6:7] offset:2816
	ds_load_b128 v[4:7], v254 offset:2816
	s_wait_loadcnt_dscnt 0x0
	v_mul_f64_e32 v[13:14], v[6:7], v[2:3]
	v_mul_f64_e32 v[15:16], v[4:5], v[2:3]
	s_delay_alu instid0(VALU_DEP_2) | instskip(NEXT) | instid1(VALU_DEP_2)
	v_fma_f64 v[2:3], v[4:5], v[0:1], -v[13:14]
	v_fma_f64 v[4:5], v[6:7], v[0:1], v[15:16]
	ds_store_b128 v254, v[2:5] offset:2816
	global_load_b128 v[0:3], v255, s[6:7] offset:3328
	ds_load_b128 v[4:7], v253 offset:3328
	ds_load_b128 v[17:20], v253 offset:3840
	ds_load_b128 v[23:26], v253 offset:4352
	ds_load_b128 v[29:32], v253 offset:4864
	s_wait_loadcnt_dscnt 0x3
	v_mul_f64_e32 v[13:14], v[6:7], v[2:3]
	v_mul_f64_e32 v[15:16], v[4:5], v[2:3]
	s_delay_alu instid0(VALU_DEP_2) | instskip(NEXT) | instid1(VALU_DEP_2)
	v_fma_f64 v[2:3], v[4:5], v[0:1], -v[13:14]
	v_fma_f64 v[4:5], v[6:7], v[0:1], v[15:16]
	global_load_b128 v[13:16], v255, s[6:7] offset:3840
	s_wait_loadcnt_dscnt 0x2
	v_mul_f64_e32 v[0:1], v[19:20], v[15:16]
	v_mul_f64_e32 v[6:7], v[17:18], v[15:16]
	s_delay_alu instid0(VALU_DEP_2) | instskip(NEXT) | instid1(VALU_DEP_2)
	v_fma_f64 v[15:16], v[17:18], v[13:14], -v[0:1]
	v_fma_f64 v[17:18], v[19:20], v[13:14], v[6:7]
	global_load_b128 v[19:22], v255, s[6:7] offset:4352
	;; [unrolled: 7-line block ×3, first 2 shown]
	s_wait_loadcnt_dscnt 0x0
	v_mul_f64_e32 v[0:1], v[31:32], v[27:28]
	v_mul_f64_e32 v[6:7], v[29:30], v[27:28]
	s_delay_alu instid0(VALU_DEP_2) | instskip(NEXT) | instid1(VALU_DEP_2)
	v_fma_f64 v[27:28], v[29:30], v[25:26], -v[0:1]
	v_fma_f64 v[29:30], v[31:32], v[25:26], v[6:7]
	ds_store_b128 v253, v[2:5] offset:3328
	ds_store_b128 v253, v[15:18] offset:3840
	;; [unrolled: 1-line block ×4, first 2 shown]
	global_wb scope:SCOPE_SE
	s_wait_dscnt 0x0
	s_barrier_signal -1
	s_barrier_wait -1
	global_inv scope:SCOPE_SE
	ds_load_b128 v[0:3], v254
	ds_load_b128 v[4:7], v254 offset:1024
	ds_load_b128 v[13:16], v254 offset:2048
	s_wait_dscnt 0x1
	v_add_f64_e32 v[17:18], v[0:1], v[4:5]
	s_wait_dscnt 0x0
	v_add_f64_e64 v[27:28], v[4:5], -v[13:14]
	v_add_f64_e64 v[29:30], v[13:14], -v[4:5]
	v_add_f64_e64 v[33:34], v[6:7], -v[15:16]
	v_add_f64_e64 v[35:36], v[15:16], -v[6:7]
	v_add_f64_e32 v[21:22], v[17:18], v[13:14]
	v_add_f64_e32 v[17:18], v[2:3], v[6:7]
	s_delay_alu instid0(VALU_DEP_1)
	v_add_f64_e32 v[23:24], v[17:18], v[15:16]
	ds_load_b128 v[17:20], v253 offset:3072
	s_wait_dscnt 0x0
	v_add_f64_e32 v[25:26], v[13:14], v[17:18]
	v_add_f64_e64 v[37:38], v[15:16], -v[19:20]
	v_add_f64_e32 v[31:32], v[15:16], v[19:20]
	v_add_f64_e64 v[39:40], v[13:14], -v[17:18]
	ds_load_b128 v[13:16], v253 offset:4096
	s_wait_dscnt 0x0
	v_add_f64_e64 v[41:42], v[6:7], -v[15:16]
	v_add_f64_e32 v[43:44], v[4:5], v[13:14]
	v_add_f64_e64 v[45:46], v[4:5], -v[13:14]
	v_add_f64_e32 v[47:48], v[6:7], v[15:16]
	v_add_f64_e32 v[4:5], v[21:22], v[17:18]
	;; [unrolled: 1-line block ×3, first 2 shown]
	v_add_f64_e64 v[49:50], v[13:14], -v[17:18]
	v_add_f64_e64 v[51:52], v[17:18], -v[13:14]
	;; [unrolled: 1-line block ×4, first 2 shown]
	v_fma_f64 v[251:252], v[31:32], -0.5, v[2:3]
	v_fma_f64 v[43:44], v[43:44], -0.5, v[0:1]
	;; [unrolled: 1-line block ×3, first 2 shown]
	v_add_f64_e32 v[57:58], v[4:5], v[13:14]
	v_add_f64_e32 v[59:60], v[6:7], v[15:16]
	ds_load_b128 v[4:7], v254 offset:1536
	ds_load_b128 v[13:16], v254 offset:512
	;; [unrolled: 1-line block ×3, first 2 shown]
	v_add_f64_e32 v[53:54], v[33:34], v[53:54]
	v_add_f64_e32 v[33:34], v[35:36], v[55:56]
	;; [unrolled: 1-line block ×4, first 2 shown]
	s_wait_dscnt 0x1
	v_add_f64_e32 v[21:22], v[13:14], v[4:5]
	s_wait_dscnt 0x0
	v_add_f64_e64 v[69:70], v[4:5], -v[17:18]
	v_add_f64_e64 v[71:72], v[17:18], -v[4:5]
	;; [unrolled: 1-line block ×4, first 2 shown]
	v_add_f64_e32 v[61:62], v[21:22], v[17:18]
	v_add_f64_e32 v[21:22], v[15:16], v[6:7]
	s_delay_alu instid0(VALU_DEP_1)
	v_add_f64_e32 v[63:64], v[21:22], v[19:20]
	ds_load_b128 v[21:24], v253 offset:3584
	s_wait_dscnt 0x0
	v_add_f64_e32 v[73:74], v[19:20], v[23:24]
	v_add_f64_e32 v[65:66], v[17:18], v[21:22]
	v_add_f64_e64 v[67:68], v[19:20], -v[23:24]
	v_add_f64_e64 v[75:76], v[17:18], -v[21:22]
	ds_load_b128 v[17:20], v253 offset:4608
	s_wait_dscnt 0x0
	v_add_f64_e32 v[247:248], v[4:5], v[17:18]
	v_add_f64_e64 v[77:78], v[4:5], -v[17:18]
	v_add_f64_e64 v[245:246], v[6:7], -v[19:20]
	v_add_f64_e32 v[4:5], v[6:7], v[19:20]
	v_add_f64_e32 v[6:7], v[61:62], v[21:22]
	v_add_f64_e64 v[8:9], v[19:20], -v[23:24]
	v_add_f64_e32 v[61:62], v[63:64], v[23:24]
	v_add_f64_e64 v[63:64], v[17:18], -v[21:22]
	v_add_f64_e64 v[21:22], v[21:22], -v[17:18]
	v_add_f64_e64 v[23:24], v[23:24], -v[19:20]
	v_fma_f64 v[47:48], v[73:74], -0.5, v[15:16]
	v_fma_f64 v[65:66], v[65:66], -0.5, v[13:14]
	;; [unrolled: 1-line block ×4, first 2 shown]
	v_add_f64_e32 v[6:7], v[6:7], v[17:18]
	v_add_f64_e32 v[8:9], v[241:242], v[8:9]
	;; [unrolled: 1-line block ×3, first 2 shown]
	v_fma_f64 v[61:62], v[25:26], -0.5, v[0:1]
	v_add_f64_e32 v[35:36], v[71:72], v[21:22]
	v_add_f64_e32 v[51:52], v[243:244], v[23:24]
	v_fma_f64 v[13:14], v[77:78], s[16:17], v[47:48]
	v_fma_f64 v[15:16], v[245:246], s[18:19], v[65:66]
	;; [unrolled: 1-line block ×4, first 2 shown]
	v_add_f64_e32 v[0:1], v[57:58], v[6:7]
	v_add_f64_e64 v[4:5], v[57:58], -v[6:7]
	v_add_f64_e32 v[57:58], v[69:70], v[63:64]
	v_add_f64_e32 v[2:3], v[59:60], v[17:18]
	v_add_f64_e64 v[6:7], v[59:60], -v[17:18]
	v_fma_f64 v[13:14], v[75:76], s[2:3], v[13:14]
	v_fma_f64 v[15:16], v[67:68], s[12:13], v[15:16]
	;; [unrolled: 1-line block ×4, first 2 shown]
	s_delay_alu instid0(VALU_DEP_4) | instskip(NEXT) | instid1(VALU_DEP_4)
	v_fma_f64 v[13:14], v[8:9], s[14:15], v[13:14]
	v_fma_f64 v[15:16], v[57:58], s[14:15], v[15:16]
	s_delay_alu instid0(VALU_DEP_4) | instskip(NEXT) | instid1(VALU_DEP_4)
	v_fma_f64 v[23:24], v[35:36], s[14:15], v[23:24]
	v_fma_f64 v[21:22], v[51:52], s[14:15], v[21:22]
	s_delay_alu instid0(VALU_DEP_4) | instskip(NEXT) | instid1(VALU_DEP_1)
	v_mul_f64_e32 v[17:18], s[12:13], v[13:14]
	v_fma_f64 v[17:18], v[15:16], s[20:21], v[17:18]
	v_mul_f64_e32 v[15:16], s[2:3], v[15:16]
	s_delay_alu instid0(VALU_DEP_1) | instskip(SKIP_2) | instid1(VALU_DEP_2)
	v_fma_f64 v[19:20], v[13:14], s[20:21], v[15:16]
	v_fma_f64 v[13:14], v[41:42], s[18:19], v[61:62]
	;; [unrolled: 1-line block ×4, first 2 shown]
	s_delay_alu instid0(VALU_DEP_2) | instskip(NEXT) | instid1(VALU_DEP_2)
	v_fma_f64 v[15:16], v[39:40], s[2:3], v[15:16]
	v_fma_f64 v[25:26], v[49:50], s[14:15], v[13:14]
	s_delay_alu instid0(VALU_DEP_2) | instskip(NEXT) | instid1(VALU_DEP_2)
	v_fma_f64 v[27:28], v[53:54], s[14:15], v[15:16]
	v_add_f64_e32 v[13:14], v[25:26], v[17:18]
	v_add_f64_e64 v[17:18], v[25:26], -v[17:18]
	v_mul_f64_e32 v[25:26], s[18:19], v[21:22]
	v_mul_f64_e32 v[21:22], s[14:15], v[21:22]
	v_add_f64_e32 v[15:16], v[27:28], v[19:20]
	v_add_f64_e64 v[19:20], v[27:28], -v[19:20]
	s_delay_alu instid0(VALU_DEP_4) | instskip(NEXT) | instid1(VALU_DEP_4)
	v_fma_f64 v[25:26], v[23:24], s[14:15], v[25:26]
	v_fma_f64 v[27:28], v[23:24], s[16:17], v[21:22]
	;; [unrolled: 1-line block ×5, first 2 shown]
	s_delay_alu instid0(VALU_DEP_3) | instskip(NEXT) | instid1(VALU_DEP_3)
	v_fma_f64 v[21:22], v[41:42], s[12:13], v[21:22]
	v_fma_f64 v[43:44], v[41:42], s[2:3], v[43:44]
	s_delay_alu instid0(VALU_DEP_3) | instskip(SKIP_1) | instid1(VALU_DEP_4)
	v_fma_f64 v[23:24], v[45:46], s[2:3], v[23:24]
	v_fma_f64 v[41:42], v[41:42], s[16:17], v[61:62]
	;; [unrolled: 1-line block ×3, first 2 shown]
	s_delay_alu instid0(VALU_DEP_4)
	v_fma_f64 v[43:44], v[29:30], s[14:15], v[43:44]
	v_fma_f64 v[29:30], v[39:40], s[16:17], v[31:32]
	;; [unrolled: 1-line block ×5, first 2 shown]
	v_add_f64_e32 v[21:22], v[55:56], v[25:26]
	v_add_f64_e64 v[25:26], v[55:56], -v[25:26]
	v_fma_f64 v[29:30], v[45:46], s[12:13], v[29:30]
	v_fma_f64 v[31:32], v[245:246], s[2:3], v[31:32]
	;; [unrolled: 1-line block ×3, first 2 shown]
	v_add_f64_e32 v[23:24], v[59:60], v[27:28]
	v_add_f64_e64 v[27:28], v[59:60], -v[27:28]
	v_fma_f64 v[55:56], v[33:34], s[14:15], v[29:30]
	v_fma_f64 v[29:30], v[75:76], s[16:17], v[247:248]
	;; [unrolled: 1-line block ×4, first 2 shown]
	s_delay_alu instid0(VALU_DEP_3) | instskip(NEXT) | instid1(VALU_DEP_2)
	v_fma_f64 v[29:30], v[77:78], s[12:13], v[29:30]
	v_fma_f64 v[45:46], v[53:54], s[14:15], v[39:40]
	s_delay_alu instid0(VALU_DEP_2) | instskip(NEXT) | instid1(VALU_DEP_1)
	v_fma_f64 v[29:30], v[51:52], s[14:15], v[29:30]
	v_mul_f64_e32 v[33:34], s[18:19], v[29:30]
	v_mul_f64_e32 v[29:30], s[22:23], v[29:30]
	s_delay_alu instid0(VALU_DEP_2) | instskip(NEXT) | instid1(VALU_DEP_2)
	v_fma_f64 v[33:34], v[31:32], s[22:23], v[33:34]
	v_fma_f64 v[35:36], v[31:32], s[16:17], v[29:30]
	s_delay_alu instid0(VALU_DEP_2)
	v_add_f64_e32 v[29:30], v[43:44], v[33:34]
	v_add_f64_e64 v[33:34], v[43:44], -v[33:34]
	v_fma_f64 v[43:44], v[77:78], s[18:19], v[47:48]
	v_fma_f64 v[47:48], v[245:246], s[16:17], v[65:66]
	v_add_f64_e32 v[31:32], v[55:56], v[35:36]
	v_add_f64_e64 v[35:36], v[55:56], -v[35:36]
	s_delay_alu instid0(VALU_DEP_4) | instskip(NEXT) | instid1(VALU_DEP_4)
	v_fma_f64 v[43:44], v[75:76], s[12:13], v[43:44]
	v_fma_f64 v[41:42], v[67:68], s[2:3], v[47:48]
	s_delay_alu instid0(VALU_DEP_2) | instskip(SKIP_1) | instid1(VALU_DEP_3)
	v_fma_f64 v[8:9], v[8:9], s[14:15], v[43:44]
	v_fma_f64 v[43:44], v[49:50], s[14:15], v[37:38]
	v_fma_f64 v[37:38], v[57:58], s[14:15], v[41:42]
	s_delay_alu instid0(VALU_DEP_3) | instskip(SKIP_1) | instid1(VALU_DEP_2)
	v_mul_f64_e32 v[39:40], s[12:13], v[8:9]
	v_mul_f64_e32 v[8:9], s[24:25], v[8:9]
	v_fma_f64 v[41:42], v[37:38], s[24:25], v[39:40]
	s_delay_alu instid0(VALU_DEP_2) | instskip(NEXT) | instid1(VALU_DEP_2)
	v_fma_f64 v[8:9], v[37:38], s[2:3], v[8:9]
	v_add_f64_e32 v[37:38], v[43:44], v[41:42]
	s_delay_alu instid0(VALU_DEP_2)
	v_add_f64_e32 v[39:40], v[45:46], v[8:9]
	v_add_f64_e64 v[41:42], v[43:44], -v[41:42]
	v_add_f64_e64 v[43:44], v[45:46], -v[8:9]
	ds_load_b128 v[45:48], v254 offset:256
	ds_load_b128 v[49:52], v253 offset:3328
	ds_load_b128 v[53:56], v253 offset:4352
	ds_load_b128 v[57:60], v254 offset:768
	ds_load_b128 v[61:64], v253 offset:1280
	ds_load_b128 v[65:68], v253 offset:3840
	ds_load_b128 v[69:72], v253 offset:4864
	ds_load_b128 v[73:76], v253 offset:1792
	ds_load_b128 v[241:244], v253 offset:2304
	ds_load_b128 v[245:248], v254 offset:2816
	global_wb scope:SCOPE_SE
	s_wait_dscnt 0x0
	s_barrier_signal -1
	s_barrier_wait -1
	global_inv scope:SCOPE_SE
	ds_store_b128 v12, v[0:3]
	ds_store_b128 v12, v[4:7] offset:80
	ds_store_b128 v12, v[13:16] offset:16
	;; [unrolled: 1-line block ×9, first 2 shown]
	v_add_f64_e32 v[0:1], v[45:46], v[61:62]
	v_add_f64_e32 v[2:3], v[47:48], v[63:64]
	;; [unrolled: 1-line block ×4, first 2 shown]
	v_add_f64_e64 v[39:40], v[63:64], -v[55:56]
	v_add_f64_e32 v[18:19], v[63:64], v[55:56]
	v_add_f64_e64 v[29:30], v[55:56], -v[51:52]
	v_add_f64_e64 v[31:32], v[51:52], -v[55:56]
	v_add_f64_e64 v[8:9], v[243:244], -v[51:52]
	v_add_f64_e64 v[12:13], v[61:62], -v[241:242]
	v_add_f64_e64 v[21:22], v[241:242], -v[61:62]
	v_add_f64_e64 v[14:15], v[63:64], -v[243:244]
	v_add_f64_e64 v[23:24], v[243:244], -v[63:64]
	v_add_f64_e32 v[16:17], v[61:62], v[53:54]
	v_add_f64_e64 v[41:42], v[61:62], -v[53:54]
	v_add_f64_e64 v[25:26], v[53:54], -v[49:50]
	;; [unrolled: 1-line block ×3, first 2 shown]
	v_add_f64_e32 v[43:44], v[245:246], v[65:66]
	v_add_f64_e64 v[61:62], v[245:246], -v[65:66]
	v_add_f64_e64 v[37:38], v[241:242], -v[49:50]
	;; [unrolled: 1-line block ×4, first 2 shown]
	v_add_f64_e32 v[0:1], v[0:1], v[241:242]
	v_add_f64_e32 v[2:3], v[2:3], v[243:244]
	;; [unrolled: 1-line block ×3, first 2 shown]
	v_fma_f64 v[251:252], v[4:5], -0.5, v[45:46]
	v_fma_f64 v[4:5], v[6:7], -0.5, v[47:48]
	;; [unrolled: 1-line block ×3, first 2 shown]
	v_add_f64_e64 v[241:242], v[75:76], -v[71:72]
	v_add_f64_e32 v[31:32], v[23:24], v[31:32]
	v_fma_f64 v[45:46], v[16:17], -0.5, v[45:46]
	v_fma_f64 v[43:44], v[43:44], -0.5, v[57:58]
	v_add_f64_e32 v[0:1], v[0:1], v[49:50]
	v_add_f64_e32 v[2:3], v[2:3], v[51:52]
	v_add_f64_e64 v[51:52], v[73:74], -v[245:246]
	v_add_f64_e64 v[49:50], v[247:248], -v[67:68]
	v_fma_f64 v[243:244], v[243:244], -0.5, v[57:58]
	v_add_f64_e32 v[33:34], v[0:1], v[53:54]
	v_add_f64_e32 v[0:1], v[57:58], v[73:74]
	;; [unrolled: 1-line block ×5, first 2 shown]
	v_add_f64_e64 v[53:54], v[245:246], -v[73:74]
	v_add_f64_e64 v[73:74], v[73:74], -v[69:70]
	v_add_f64_e32 v[75:76], v[75:76], v[71:72]
	v_fma_f64 v[23:24], v[49:50], s[16:17], v[243:244]
	v_add_f64_e32 v[0:1], v[0:1], v[245:246]
	v_add_f64_e64 v[245:246], v[69:70], -v[65:66]
	v_add_f64_e32 v[2:3], v[2:3], v[247:248]
	v_fma_f64 v[47:48], v[55:56], -0.5, v[59:60]
	v_add_f64_e64 v[247:248], v[71:72], -v[67:68]
	v_fma_f64 v[59:60], v[75:76], -0.5, v[59:60]
	v_fma_f64 v[23:24], v[241:242], s[12:13], v[23:24]
	v_add_f64_e32 v[0:1], v[0:1], v[65:66]
	v_add_f64_e64 v[65:66], v[65:66], -v[69:70]
	v_add_f64_e32 v[2:3], v[2:3], v[67:68]
	v_add_f64_e64 v[67:68], v[67:68], -v[71:72]
	v_add_f64_e32 v[63:64], v[63:64], v[247:248]
	v_add_f64_e32 v[51:52], v[51:52], v[245:246]
	;; [unrolled: 1-line block ×4, first 2 shown]
	s_delay_alu instid0(VALU_DEP_2)
	v_add_f64_e32 v[0:1], v[33:34], v[69:70]
	v_add_f64_e64 v[55:56], v[33:34], -v[69:70]
	v_add_f64_e32 v[69:70], v[12:13], v[25:26]
	v_fma_f64 v[12:13], v[73:74], s[16:17], v[47:48]
	v_add_f64_e32 v[2:3], v[35:36], v[71:72]
	v_add_f64_e64 v[57:58], v[35:36], -v[71:72]
	v_add_f64_e32 v[71:72], v[14:15], v[29:30]
	v_fma_f64 v[14:15], v[241:242], s[18:19], v[43:44]
	v_add_f64_e32 v[35:36], v[77:78], v[67:68]
	v_add_f64_e32 v[33:34], v[53:54], v[65:66]
	v_fma_f64 v[12:13], v[61:62], s[2:3], v[12:13]
	s_delay_alu instid0(VALU_DEP_4) | instskip(NEXT) | instid1(VALU_DEP_3)
	v_fma_f64 v[14:15], v[49:50], s[12:13], v[14:15]
	v_fma_f64 v[23:24], v[33:34], s[14:15], v[23:24]
	s_delay_alu instid0(VALU_DEP_3) | instskip(NEXT) | instid1(VALU_DEP_3)
	v_fma_f64 v[12:13], v[63:64], s[14:15], v[12:13]
	v_fma_f64 v[14:15], v[51:52], s[14:15], v[14:15]
	s_delay_alu instid0(VALU_DEP_2) | instskip(NEXT) | instid1(VALU_DEP_1)
	v_mul_f64_e32 v[16:17], s[12:13], v[12:13]
	v_fma_f64 v[17:18], v[14:15], s[20:21], v[16:17]
	v_mul_f64_e32 v[14:15], s[2:3], v[14:15]
	s_delay_alu instid0(VALU_DEP_1) | instskip(SKIP_3) | instid1(VALU_DEP_3)
	v_fma_f64 v[19:20], v[12:13], s[20:21], v[14:15]
	v_fma_f64 v[14:15], v[41:42], s[16:17], v[4:5]
	;; [unrolled: 1-line block ×5, first 2 shown]
	s_delay_alu instid0(VALU_DEP_3) | instskip(NEXT) | instid1(VALU_DEP_3)
	v_fma_f64 v[12:13], v[8:9], s[12:13], v[12:13]
	v_fma_f64 v[4:5], v[37:38], s[12:13], v[4:5]
	s_delay_alu instid0(VALU_DEP_3) | instskip(NEXT) | instid1(VALU_DEP_3)
	v_fma_f64 v[29:30], v[71:72], s[14:15], v[14:15]
	v_fma_f64 v[25:26], v[69:70], s[14:15], v[12:13]
	s_delay_alu instid0(VALU_DEP_3) | instskip(NEXT) | instid1(VALU_DEP_3)
	v_fma_f64 v[4:5], v[71:72], s[14:15], v[4:5]
	v_add_f64_e32 v[15:16], v[29:30], v[19:20]
	v_add_f64_e64 v[19:20], v[29:30], -v[19:20]
	v_add_f64_e32 v[29:30], v[21:22], v[27:28]
	v_fma_f64 v[21:22], v[61:62], s[18:19], v[59:60]
	v_add_f64_e32 v[13:14], v[25:26], v[17:18]
	v_add_f64_e64 v[17:18], v[25:26], -v[17:18]
	s_delay_alu instid0(VALU_DEP_3) | instskip(NEXT) | instid1(VALU_DEP_1)
	v_fma_f64 v[21:22], v[73:74], s[2:3], v[21:22]
	v_fma_f64 v[21:22], v[35:36], s[14:15], v[21:22]
	s_delay_alu instid0(VALU_DEP_1) | instskip(SKIP_1) | instid1(VALU_DEP_2)
	v_mul_f64_e32 v[25:26], s[18:19], v[21:22]
	v_mul_f64_e32 v[21:22], s[14:15], v[21:22]
	v_fma_f64 v[25:26], v[23:24], s[14:15], v[25:26]
	s_delay_alu instid0(VALU_DEP_2) | instskip(SKIP_4) | instid1(VALU_DEP_4)
	v_fma_f64 v[27:28], v[23:24], s[16:17], v[21:22]
	v_fma_f64 v[21:22], v[8:9], s[16:17], v[45:46]
	;; [unrolled: 1-line block ×6, first 2 shown]
	s_delay_alu instid0(VALU_DEP_4) | instskip(NEXT) | instid1(VALU_DEP_4)
	v_fma_f64 v[45:46], v[39:40], s[2:3], v[45:46]
	v_fma_f64 v[23:24], v[41:42], s[2:3], v[23:24]
	s_delay_alu instid0(VALU_DEP_4)
	v_fma_f64 v[6:7], v[41:42], s[12:13], v[6:7]
	v_fma_f64 v[41:42], v[241:242], s[16:17], v[43:44]
	;; [unrolled: 1-line block ×11, first 2 shown]
	v_add_f64_e32 v[21:22], v[53:54], v[25:26]
	v_add_f64_e64 v[25:26], v[53:54], -v[25:26]
	v_fma_f64 v[29:30], v[73:74], s[12:13], v[29:30]
	v_add_f64_e32 v[23:24], v[65:66], v[27:28]
	v_add_f64_e64 v[27:28], v[65:66], -v[27:28]
	v_fma_f64 v[31:32], v[241:242], s[2:3], v[31:32]
	v_fma_f64 v[37:38], v[51:52], s[14:15], v[37:38]
	;; [unrolled: 1-line block ×4, first 2 shown]
	s_delay_alu instid0(VALU_DEP_4) | instskip(NEXT) | instid1(VALU_DEP_2)
	v_fma_f64 v[31:32], v[33:34], s[14:15], v[31:32]
	v_mul_f64_e32 v[33:34], s[18:19], v[29:30]
	v_mul_f64_e32 v[29:30], s[22:23], v[29:30]
	s_delay_alu instid0(VALU_DEP_2) | instskip(NEXT) | instid1(VALU_DEP_2)
	v_fma_f64 v[33:34], v[31:32], s[22:23], v[33:34]
	v_fma_f64 v[35:36], v[31:32], s[16:17], v[29:30]
	s_delay_alu instid0(VALU_DEP_2) | instskip(NEXT) | instid1(VALU_DEP_2)
	v_add_f64_e32 v[29:30], v[45:46], v[33:34]
	v_add_f64_e32 v[31:32], v[6:7], v[35:36]
	v_add_f64_e64 v[35:36], v[6:7], -v[35:36]
	v_fma_f64 v[6:7], v[73:74], s[18:19], v[47:48]
	v_add_f64_e64 v[33:34], v[45:46], -v[33:34]
	s_delay_alu instid0(VALU_DEP_2) | instskip(NEXT) | instid1(VALU_DEP_1)
	v_fma_f64 v[6:7], v[61:62], s[12:13], v[6:7]
	v_fma_f64 v[6:7], v[63:64], s[14:15], v[6:7]
	s_delay_alu instid0(VALU_DEP_1) | instskip(SKIP_1) | instid1(VALU_DEP_2)
	v_mul_f64_e32 v[39:40], s[12:13], v[6:7]
	v_mul_f64_e32 v[6:7], s[24:25], v[6:7]
	v_fma_f64 v[41:42], v[37:38], s[24:25], v[39:40]
	s_delay_alu instid0(VALU_DEP_2) | instskip(SKIP_1) | instid1(VALU_DEP_2)
	v_fma_f64 v[6:7], v[37:38], s[2:3], v[6:7]
	s_lshl_b64 s[2:3], s[4:5], 9
	v_add_f64_e32 v[37:38], v[8:9], v[41:42]
	s_delay_alu instid0(VALU_DEP_2)
	v_add_f64_e32 v[39:40], v[4:5], v[6:7]
	v_add_f64_e64 v[41:42], v[8:9], -v[41:42]
	v_add_f64_e64 v[43:44], v[4:5], -v[6:7]
	ds_store_b128 v79, v[0:3]
	ds_store_b128 v79, v[13:16] offset:16
	ds_store_b128 v79, v[21:24] offset:32
	;; [unrolled: 1-line block ×9, first 2 shown]
	global_wb scope:SCOPE_SE
	s_wait_dscnt 0x0
	s_barrier_signal -1
	s_barrier_wait -1
	global_inv scope:SCOPE_SE
	ds_load_b128 v[0:3], v254 offset:1280
	s_wait_dscnt 0x0
	v_mul_f64_e32 v[4:5], v[83:84], v[2:3]
	s_delay_alu instid0(VALU_DEP_1) | instskip(SKIP_1) | instid1(VALU_DEP_1)
	v_fma_f64 v[8:9], v[81:82], v[0:1], v[4:5]
	v_mul_f64_e32 v[0:1], v[83:84], v[0:1]
	v_fma_f64 v[28:29], v[81:82], v[2:3], -v[0:1]
	ds_load_b128 v[0:3], v254 offset:2560
	s_wait_dscnt 0x0
	v_mul_f64_e32 v[4:5], v[123:124], v[2:3]
	s_delay_alu instid0(VALU_DEP_1) | instskip(SKIP_1) | instid1(VALU_DEP_1)
	v_fma_f64 v[4:5], v[121:122], v[0:1], v[4:5]
	v_mul_f64_e32 v[0:1], v[123:124], v[0:1]
	v_fma_f64 v[6:7], v[121:122], v[2:3], -v[0:1]
	ds_load_b128 v[0:3], v254 offset:3840
	s_wait_dscnt 0x0
	v_mul_f64_e32 v[12:13], v[131:132], v[2:3]
	s_delay_alu instid0(VALU_DEP_1) | instskip(SKIP_1) | instid1(VALU_DEP_2)
	v_fma_f64 v[12:13], v[129:130], v[0:1], v[12:13]
	v_mul_f64_e32 v[0:1], v[131:132], v[0:1]
	v_add_f64_e64 v[121:122], v[8:9], -v[12:13]
	s_delay_alu instid0(VALU_DEP_2) | instskip(SKIP_4) | instid1(VALU_DEP_2)
	v_fma_f64 v[14:15], v[129:130], v[2:3], -v[0:1]
	ds_load_b128 v[0:3], v254 offset:1536
	s_wait_dscnt 0x0
	v_mul_f64_e32 v[16:17], v[135:136], v[2:3]
	v_add_f64_e64 v[83:84], v[28:29], -v[14:15]
	v_fma_f64 v[32:33], v[133:134], v[0:1], v[16:17]
	v_mul_f64_e32 v[0:1], v[135:136], v[0:1]
	s_delay_alu instid0(VALU_DEP_1) | instskip(SKIP_3) | instid1(VALU_DEP_1)
	v_fma_f64 v[34:35], v[133:134], v[2:3], -v[0:1]
	ds_load_b128 v[0:3], v254 offset:2816
	s_wait_dscnt 0x0
	v_mul_f64_e32 v[16:17], v[139:140], v[2:3]
	v_fma_f64 v[36:37], v[137:138], v[0:1], v[16:17]
	v_mul_f64_e32 v[0:1], v[139:140], v[0:1]
	s_delay_alu instid0(VALU_DEP_1) | instskip(SKIP_3) | instid1(VALU_DEP_1)
	v_fma_f64 v[38:39], v[137:138], v[2:3], -v[0:1]
	ds_load_b128 v[0:3], v254 offset:4096
	s_wait_dscnt 0x0
	v_mul_f64_e32 v[16:17], v[143:144], v[2:3]
	;; [unrolled: 7-line block ×11, first 2 shown]
	v_fma_f64 v[76:77], v[177:178], v[0:1], v[16:17]
	v_mul_f64_e32 v[0:1], v[179:180], v[0:1]
	s_delay_alu instid0(VALU_DEP_1)
	v_fma_f64 v[78:79], v[177:178], v[2:3], -v[0:1]
	ds_load_b128 v[0:3], v254
	ds_load_b128 v[12:15], v254 offset:1024
	ds_load_b128 v[16:19], v254 offset:256
	;; [unrolled: 1-line block ×4, first 2 shown]
	global_wb scope:SCOPE_SE
	s_wait_dscnt 0x0
	s_barrier_signal -1
	s_barrier_wait -1
	global_inv scope:SCOPE_SE
	v_add_f64_e64 v[4:5], v[0:1], -v[4:5]
	v_add_f64_e64 v[6:7], v[2:3], -v[6:7]
	s_delay_alu instid0(VALU_DEP_2) | instskip(NEXT) | instid1(VALU_DEP_2)
	v_fma_f64 v[30:31], v[0:1], 2.0, -v[4:5]
	v_fma_f64 v[81:82], v[2:3], 2.0, -v[6:7]
	v_add_f64_e32 v[0:1], v[4:5], v[83:84]
	v_add_f64_e64 v[2:3], v[6:7], -v[121:122]
	s_delay_alu instid0(VALU_DEP_2) | instskip(NEXT) | instid1(VALU_DEP_2)
	v_fma_f64 v[4:5], v[4:5], 2.0, -v[0:1]
	v_fma_f64 v[6:7], v[6:7], 2.0, -v[2:3]
	ds_store_b128 v249, v[0:3] offset:480
	v_fma_f64 v[0:1], v[8:9], 2.0, -v[121:122]
	v_fma_f64 v[2:3], v[28:29], 2.0, -v[83:84]
	v_add_f64_e64 v[8:9], v[16:17], -v[36:37]
	s_delay_alu instid0(VALU_DEP_3) | instskip(NEXT) | instid1(VALU_DEP_3)
	v_add_f64_e64 v[0:1], v[30:31], -v[0:1]
	v_add_f64_e64 v[2:3], v[81:82], -v[2:3]
	s_delay_alu instid0(VALU_DEP_2) | instskip(NEXT) | instid1(VALU_DEP_2)
	v_fma_f64 v[28:29], v[30:31], 2.0, -v[0:1]
	v_fma_f64 v[30:31], v[81:82], 2.0, -v[2:3]
	ds_store_b128 v249, v[0:3] offset:320
	ds_store_b128 v249, v[4:7] offset:160
	ds_store_b128 v249, v[28:31]
	v_add_f64_e64 v[28:29], v[18:19], -v[38:39]
	v_fma_f64 v[4:5], v[16:17], 2.0, -v[8:9]
	v_add_f64_e64 v[16:17], v[32:33], -v[40:41]
	s_delay_alu instid0(VALU_DEP_3) | instskip(SKIP_1) | instid1(VALU_DEP_3)
	v_fma_f64 v[6:7], v[18:19], 2.0, -v[28:29]
	v_add_f64_e64 v[18:19], v[34:35], -v[42:43]
	v_fma_f64 v[0:1], v[32:33], 2.0, -v[16:17]
	s_delay_alu instid0(VALU_DEP_2) | instskip(NEXT) | instid1(VALU_DEP_2)
	v_fma_f64 v[2:3], v[34:35], 2.0, -v[18:19]
	v_add_f64_e64 v[0:1], v[4:5], -v[0:1]
	s_delay_alu instid0(VALU_DEP_2) | instskip(NEXT) | instid1(VALU_DEP_2)
	v_add_f64_e64 v[2:3], v[6:7], -v[2:3]
	v_fma_f64 v[4:5], v[4:5], 2.0, -v[0:1]
	s_delay_alu instid0(VALU_DEP_2) | instskip(SKIP_3) | instid1(VALU_DEP_2)
	v_fma_f64 v[6:7], v[6:7], 2.0, -v[2:3]
	ds_store_b128 v11, v[4:7]
	v_add_f64_e32 v[4:5], v[8:9], v[18:19]
	v_add_f64_e64 v[6:7], v[28:29], -v[16:17]
	v_fma_f64 v[16:17], v[8:9], 2.0, -v[4:5]
	s_delay_alu instid0(VALU_DEP_2)
	v_fma_f64 v[18:19], v[28:29], 2.0, -v[6:7]
	v_add_f64_e64 v[8:9], v[20:21], -v[48:49]
	ds_store_b128 v11, v[16:19] offset:160
	ds_store_b128 v11, v[0:3] offset:320
	;; [unrolled: 1-line block ×3, first 2 shown]
	v_add_f64_e64 v[18:19], v[22:23], -v[50:51]
	v_fma_f64 v[4:5], v[20:21], 2.0, -v[8:9]
	v_add_f64_e64 v[16:17], v[44:45], -v[52:53]
	v_add_f64_e64 v[20:21], v[46:47], -v[54:55]
	s_delay_alu instid0(VALU_DEP_4) | instskip(NEXT) | instid1(VALU_DEP_3)
	v_fma_f64 v[6:7], v[22:23], 2.0, -v[18:19]
	v_fma_f64 v[0:1], v[44:45], 2.0, -v[16:17]
	s_delay_alu instid0(VALU_DEP_3) | instskip(NEXT) | instid1(VALU_DEP_2)
	v_fma_f64 v[2:3], v[46:47], 2.0, -v[20:21]
	v_add_f64_e64 v[0:1], v[4:5], -v[0:1]
	s_delay_alu instid0(VALU_DEP_2) | instskip(NEXT) | instid1(VALU_DEP_2)
	v_add_f64_e64 v[2:3], v[6:7], -v[2:3]
	v_fma_f64 v[4:5], v[4:5], 2.0, -v[0:1]
	s_delay_alu instid0(VALU_DEP_2) | instskip(SKIP_3) | instid1(VALU_DEP_2)
	v_fma_f64 v[6:7], v[6:7], 2.0, -v[2:3]
	ds_store_b128 v10, v[4:7]
	v_add_f64_e32 v[4:5], v[8:9], v[20:21]
	v_add_f64_e64 v[6:7], v[18:19], -v[16:17]
	v_fma_f64 v[16:17], v[8:9], 2.0, -v[4:5]
	s_delay_alu instid0(VALU_DEP_2)
	v_fma_f64 v[18:19], v[18:19], 2.0, -v[6:7]
	ds_store_b128 v10, v[16:19] offset:160
	ds_store_b128 v10, v[0:3] offset:320
	;; [unrolled: 1-line block ×3, first 2 shown]
	v_add_f64_e64 v[8:9], v[24:25], -v[60:61]
	v_add_f64_e64 v[10:11], v[26:27], -v[62:63]
	;; [unrolled: 1-line block ×4, first 2 shown]
	s_delay_alu instid0(VALU_DEP_4) | instskip(NEXT) | instid1(VALU_DEP_4)
	v_fma_f64 v[4:5], v[24:25], 2.0, -v[8:9]
	v_fma_f64 v[6:7], v[26:27], 2.0, -v[10:11]
	s_delay_alu instid0(VALU_DEP_4) | instskip(NEXT) | instid1(VALU_DEP_4)
	v_fma_f64 v[0:1], v[56:57], 2.0, -v[16:17]
	v_fma_f64 v[2:3], v[58:59], 2.0, -v[18:19]
	s_delay_alu instid0(VALU_DEP_2) | instskip(NEXT) | instid1(VALU_DEP_2)
	v_add_f64_e64 v[0:1], v[4:5], -v[0:1]
	v_add_f64_e64 v[2:3], v[6:7], -v[2:3]
	s_delay_alu instid0(VALU_DEP_2) | instskip(NEXT) | instid1(VALU_DEP_2)
	v_fma_f64 v[4:5], v[4:5], 2.0, -v[0:1]
	v_fma_f64 v[6:7], v[6:7], 2.0, -v[2:3]
	ds_store_b128 v250, v[4:7]
	v_add_f64_e32 v[4:5], v[8:9], v[18:19]
	v_add_f64_e64 v[6:7], v[10:11], -v[16:17]
	s_delay_alu instid0(VALU_DEP_2) | instskip(NEXT) | instid1(VALU_DEP_2)
	v_fma_f64 v[16:17], v[8:9], 2.0, -v[4:5]
	v_fma_f64 v[18:19], v[10:11], 2.0, -v[6:7]
	v_add_f64_e64 v[8:9], v[12:13], -v[72:73]
	ds_store_b128 v250, v[16:19] offset:160
	ds_store_b128 v250, v[0:3] offset:320
	ds_store_b128 v250, v[4:7] offset:480
	v_add_f64_e64 v[16:17], v[14:15], -v[74:75]
	v_fma_f64 v[4:5], v[12:13], 2.0, -v[8:9]
	v_add_f64_e64 v[10:11], v[68:69], -v[76:77]
	v_add_f64_e64 v[12:13], v[70:71], -v[78:79]
	s_delay_alu instid0(VALU_DEP_4) | instskip(NEXT) | instid1(VALU_DEP_3)
	v_fma_f64 v[6:7], v[14:15], 2.0, -v[16:17]
	v_fma_f64 v[0:1], v[68:69], 2.0, -v[10:11]
	s_delay_alu instid0(VALU_DEP_3) | instskip(NEXT) | instid1(VALU_DEP_2)
	v_fma_f64 v[2:3], v[70:71], 2.0, -v[12:13]
	v_add_f64_e64 v[0:1], v[4:5], -v[0:1]
	s_delay_alu instid0(VALU_DEP_2) | instskip(NEXT) | instid1(VALU_DEP_2)
	v_add_f64_e64 v[2:3], v[6:7], -v[2:3]
	v_fma_f64 v[4:5], v[4:5], 2.0, -v[0:1]
	s_delay_alu instid0(VALU_DEP_2) | instskip(SKIP_3) | instid1(VALU_DEP_2)
	v_fma_f64 v[6:7], v[6:7], 2.0, -v[2:3]
	ds_store_b128 v80, v[4:7]
	v_add_f64_e32 v[4:5], v[8:9], v[12:13]
	v_add_f64_e64 v[6:7], v[16:17], -v[10:11]
	v_fma_f64 v[9:10], v[8:9], 2.0, -v[4:5]
	s_delay_alu instid0(VALU_DEP_2)
	v_fma_f64 v[11:12], v[16:17], 2.0, -v[6:7]
	ds_store_b128 v80, v[9:12] offset:160
	ds_store_b128 v80, v[0:3] offset:320
	;; [unrolled: 1-line block ×3, first 2 shown]
	global_wb scope:SCOPE_SE
	s_wait_dscnt 0x0
	s_barrier_signal -1
	s_barrier_wait -1
	global_inv scope:SCOPE_SE
	ds_load_b128 v[0:3], v254 offset:1280
	s_wait_dscnt 0x0
	v_mul_f64_e32 v[4:5], v[183:184], v[2:3]
	s_delay_alu instid0(VALU_DEP_1) | instskip(SKIP_1) | instid1(VALU_DEP_1)
	v_fma_f64 v[145:146], v[181:182], v[0:1], v[4:5]
	v_mul_f64_e32 v[0:1], v[183:184], v[0:1]
	v_fma_f64 v[147:148], v[181:182], v[2:3], -v[0:1]
	ds_load_b128 v[0:3], v254 offset:2560
	s_wait_dscnt 0x0
	v_mul_f64_e32 v[4:5], v[195:196], v[2:3]
	s_delay_alu instid0(VALU_DEP_1) | instskip(SKIP_1) | instid1(VALU_DEP_1)
	v_fma_f64 v[4:5], v[193:194], v[0:1], v[4:5]
	v_mul_f64_e32 v[0:1], v[195:196], v[0:1]
	v_fma_f64 v[6:7], v[193:194], v[2:3], -v[0:1]
	;; [unrolled: 7-line block ×5, first 2 shown]
	ds_load_b128 v[0:3], v254 offset:4096
	s_wait_dscnt 0x0
	v_mul_f64_e32 v[12:13], v[219:220], v[2:3]
	s_delay_alu instid0(VALU_DEP_1) | instskip(SKIP_1) | instid1(VALU_DEP_2)
	v_fma_f64 v[169:170], v[217:218], v[0:1], v[12:13]
	v_mul_f64_e32 v[0:1], v[219:220], v[0:1]
	v_add_f64_e64 v[15:16], v[149:150], -v[169:170]
	s_delay_alu instid0(VALU_DEP_2) | instskip(SKIP_3) | instid1(VALU_DEP_1)
	v_fma_f64 v[179:180], v[217:218], v[2:3], -v[0:1]
	ds_load_b128 v[0:3], v254 offset:1792
	s_wait_dscnt 0x0
	v_mul_f64_e32 v[12:13], v[227:228], v[2:3]
	v_fma_f64 v[153:154], v[225:226], v[0:1], v[12:13]
	v_mul_f64_e32 v[0:1], v[227:228], v[0:1]
	s_delay_alu instid0(VALU_DEP_1) | instskip(SKIP_3) | instid1(VALU_DEP_1)
	v_fma_f64 v[155:156], v[225:226], v[2:3], -v[0:1]
	ds_load_b128 v[0:3], v254 offset:3072
	s_wait_dscnt 0x0
	v_mul_f64_e32 v[12:13], v[207:208], v[2:3]
	v_fma_f64 v[173:174], v[205:206], v[0:1], v[12:13]
	v_mul_f64_e32 v[0:1], v[207:208], v[0:1]
	s_delay_alu instid0(VALU_DEP_1) | instskip(SKIP_3) | instid1(VALU_DEP_1)
	;; [unrolled: 7-line block ×3, first 2 shown]
	v_fma_f64 v[195:196], v[197:198], v[2:3], -v[0:1]
	ds_load_b128 v[0:3], v254 offset:2048
	s_wait_dscnt 0x0
	v_mul_f64_e32 v[12:13], v[203:204], v[2:3]
	v_fma_f64 v[157:158], v[201:202], v[0:1], v[12:13]
	v_mul_f64_e32 v[0:1], v[203:204], v[0:1]
	v_add_f64_e64 v[203:204], v[145:146], -v[8:9]
	s_delay_alu instid0(VALU_DEP_2) | instskip(SKIP_4) | instid1(VALU_DEP_1)
	v_fma_f64 v[159:160], v[201:202], v[2:3], -v[0:1]
	ds_load_b128 v[0:3], v254 offset:3328
	v_add_f64_e64 v[201:202], v[147:148], -v[10:11]
	s_wait_dscnt 0x0
	v_mul_f64_e32 v[12:13], v[211:212], v[2:3]
	v_fma_f64 v[171:172], v[209:210], v[0:1], v[12:13]
	v_mul_f64_e32 v[0:1], v[211:212], v[0:1]
	s_delay_alu instid0(VALU_DEP_1) | instskip(SKIP_3) | instid1(VALU_DEP_1)
	v_fma_f64 v[175:176], v[209:210], v[2:3], -v[0:1]
	ds_load_b128 v[0:3], v254 offset:4608
	s_wait_dscnt 0x0
	v_mul_f64_e32 v[12:13], v[215:216], v[2:3]
	v_fma_f64 v[177:178], v[213:214], v[0:1], v[12:13]
	v_mul_f64_e32 v[0:1], v[215:216], v[0:1]
	s_delay_alu instid0(VALU_DEP_1) | instskip(SKIP_4) | instid1(VALU_DEP_2)
	v_fma_f64 v[183:184], v[213:214], v[2:3], -v[0:1]
	ds_load_b128 v[0:3], v254 offset:2304
	s_wait_dscnt 0x0
	v_mul_f64_e32 v[12:13], v[223:224], v[2:3]
	v_add_f64_e64 v[18:19], v[159:160], -v[183:184]
	v_fma_f64 v[163:164], v[221:222], v[0:1], v[12:13]
	v_mul_f64_e32 v[0:1], v[223:224], v[0:1]
	s_delay_alu instid0(VALU_DEP_1) | instskip(SKIP_3) | instid1(VALU_DEP_1)
	v_fma_f64 v[167:168], v[221:222], v[2:3], -v[0:1]
	ds_load_b128 v[0:3], v254 offset:3584
	s_wait_dscnt 0x0
	v_mul_f64_e32 v[12:13], v[239:240], v[2:3]
	v_fma_f64 v[185:186], v[237:238], v[0:1], v[12:13]
	v_mul_f64_e32 v[0:1], v[239:240], v[0:1]
	s_delay_alu instid0(VALU_DEP_1) | instskip(SKIP_3) | instid1(VALU_DEP_1)
	v_fma_f64 v[187:188], v[237:238], v[2:3], -v[0:1]
	ds_load_b128 v[0:3], v254 offset:4864
	s_wait_dscnt 0x0
	v_mul_f64_e32 v[12:13], v[235:236], v[2:3]
	v_fma_f64 v[189:190], v[233:234], v[0:1], v[12:13]
	v_mul_f64_e32 v[0:1], v[235:236], v[0:1]
	v_add_f64_e64 v[13:14], v[151:152], -v[179:180]
	s_delay_alu instid0(VALU_DEP_3) | instskip(NEXT) | instid1(VALU_DEP_3)
	v_add_f64_e64 v[24:25], v[163:164], -v[189:190]
	v_fma_f64 v[191:192], v[233:234], v[2:3], -v[0:1]
	ds_load_b128 v[0:3], v254
	ds_load_b128 v[141:144], v254 offset:256
	ds_load_b128 v[81:84], v254 offset:1024
	;; [unrolled: 1-line block ×4, first 2 shown]
	global_wb scope:SCOPE_SE
	s_wait_dscnt 0x0
	s_barrier_signal -1
	s_barrier_wait -1
	global_inv scope:SCOPE_SE
	v_add_f64_e64 v[20:21], v[81:82], -v[185:186]
	v_add_f64_e64 v[4:5], v[0:1], -v[4:5]
	;; [unrolled: 1-line block ×5, first 2 shown]
	s_delay_alu instid0(VALU_DEP_4) | instskip(NEXT) | instid1(VALU_DEP_4)
	v_add_f64_e32 v[129:130], v[4:5], v[201:202]
	v_add_f64_e64 v[131:132], v[6:7], -v[203:204]
	v_fma_f64 v[197:198], v[0:1], 2.0, -v[4:5]
	v_fma_f64 v[199:200], v[2:3], 2.0, -v[6:7]
	s_delay_alu instid0(VALU_DEP_4) | instskip(NEXT) | instid1(VALU_DEP_4)
	v_fma_f64 v[137:138], v[4:5], 2.0, -v[129:130]
	v_fma_f64 v[139:140], v[6:7], 2.0, -v[131:132]
	v_add_f64_e64 v[4:5], v[141:142], -v[161:162]
	v_add_f64_e64 v[6:7], v[143:144], -v[165:166]
	ds_store_b128 v254, v[129:132] offset:1920
	v_add_f64_e32 v[0:1], v[4:5], v[13:14]
	v_add_f64_e64 v[2:3], v[6:7], -v[15:16]
	v_fma_f64 v[8:9], v[141:142], 2.0, -v[4:5]
	v_fma_f64 v[11:12], v[143:144], 2.0, -v[6:7]
	s_delay_alu instid0(VALU_DEP_4) | instskip(NEXT) | instid1(VALU_DEP_4)
	v_fma_f64 v[4:5], v[4:5], 2.0, -v[0:1]
	v_fma_f64 v[6:7], v[6:7], 2.0, -v[2:3]
	ds_store_b128 v254, v[0:3] offset:2176
	ds_store_b128 v254, v[137:140] offset:640
	;; [unrolled: 1-line block ×3, first 2 shown]
	v_fma_f64 v[0:1], v[145:146], 2.0, -v[203:204]
	v_fma_f64 v[2:3], v[147:148], 2.0, -v[201:202]
	s_delay_alu instid0(VALU_DEP_2) | instskip(NEXT) | instid1(VALU_DEP_2)
	v_add_f64_e64 v[0:1], v[197:198], -v[0:1]
	v_add_f64_e64 v[2:3], v[199:200], -v[2:3]
	s_delay_alu instid0(VALU_DEP_2) | instskip(NEXT) | instid1(VALU_DEP_2)
	v_fma_f64 v[4:5], v[197:198], 2.0, -v[0:1]
	v_fma_f64 v[6:7], v[199:200], 2.0, -v[2:3]
	ds_store_b128 v254, v[0:3] offset:1280
	v_fma_f64 v[0:1], v[149:150], 2.0, -v[15:16]
	v_fma_f64 v[2:3], v[151:152], 2.0, -v[13:14]
	v_add_f64_e64 v[13:14], v[153:154], -v[193:194]
	v_add_f64_e64 v[15:16], v[155:156], -v[195:196]
	s_delay_alu instid0(VALU_DEP_4) | instskip(NEXT) | instid1(VALU_DEP_4)
	v_add_f64_e64 v[0:1], v[8:9], -v[0:1]
	v_add_f64_e64 v[2:3], v[11:12], -v[2:3]
	s_delay_alu instid0(VALU_DEP_2) | instskip(NEXT) | instid1(VALU_DEP_2)
	v_fma_f64 v[9:10], v[8:9], 2.0, -v[0:1]
	v_fma_f64 v[11:12], v[11:12], 2.0, -v[2:3]
	ds_store_b128 v254, v[0:3] offset:1536
	ds_store_b128 v254, v[4:7]
	ds_store_b128 v254, v[9:12] offset:256
	scratch_load_b32 v17, off, off offset:340 th:TH_LOAD_LU ; 4-byte Folded Reload
	v_add_f64_e64 v[8:9], v[133:134], -v[173:174]
	v_add_f64_e64 v[11:12], v[135:136], -v[181:182]
	v_fma_f64 v[0:1], v[153:154], 2.0, -v[13:14]
	v_fma_f64 v[2:3], v[155:156], 2.0, -v[15:16]
	s_delay_alu instid0(VALU_DEP_4) | instskip(NEXT) | instid1(VALU_DEP_4)
	v_fma_f64 v[4:5], v[133:134], 2.0, -v[8:9]
	v_fma_f64 v[6:7], v[135:136], 2.0, -v[11:12]
	s_delay_alu instid0(VALU_DEP_2) | instskip(NEXT) | instid1(VALU_DEP_2)
	v_add_f64_e64 v[0:1], v[4:5], -v[0:1]
	v_add_f64_e64 v[2:3], v[6:7], -v[2:3]
	s_delay_alu instid0(VALU_DEP_2) | instskip(NEXT) | instid1(VALU_DEP_2)
	v_fma_f64 v[4:5], v[4:5], 2.0, -v[0:1]
	v_fma_f64 v[6:7], v[6:7], 2.0, -v[2:3]
	s_wait_loadcnt 0x0
	ds_store_b128 v17, v[4:7]
	v_add_f64_e32 v[4:5], v[8:9], v[15:16]
	v_add_f64_e64 v[6:7], v[11:12], -v[13:14]
	v_add_f64_e64 v[14:15], v[123:124], -v[175:176]
	s_delay_alu instid0(VALU_DEP_3) | instskip(NEXT) | instid1(VALU_DEP_3)
	v_fma_f64 v[9:10], v[8:9], 2.0, -v[4:5]
	v_fma_f64 v[11:12], v[11:12], 2.0, -v[6:7]
	ds_store_b128 v17, v[9:12] offset:640
	ds_store_b128 v17, v[0:3] offset:1280
	;; [unrolled: 1-line block ×3, first 2 shown]
	v_add_f64_e64 v[12:13], v[121:122], -v[171:172]
	v_add_f64_e64 v[16:17], v[157:158], -v[177:178]
	v_fma_f64 v[6:7], v[123:124], 2.0, -v[14:15]
	v_fma_f64 v[2:3], v[159:160], 2.0, -v[18:19]
	;; [unrolled: 1-line block ×6, first 2 shown]
	v_add_f64_e64 v[2:3], v[6:7], -v[2:3]
	s_delay_alu instid0(VALU_DEP_2) | instskip(NEXT) | instid1(VALU_DEP_2)
	v_add_f64_e64 v[0:1], v[4:5], -v[0:1]
	v_fma_f64 v[6:7], v[6:7], 2.0, -v[2:3]
	s_delay_alu instid0(VALU_DEP_2) | instskip(SKIP_3) | instid1(VALU_DEP_2)
	v_fma_f64 v[4:5], v[4:5], 2.0, -v[0:1]
	ds_store_b128 v254, v[4:7] offset:2688
	v_fma_f64 v[4:5], v[163:164], 2.0, -v[24:25]
	v_fma_f64 v[6:7], v[167:168], 2.0, -v[26:27]
	v_add_f64_e64 v[4:5], v[8:9], -v[4:5]
	s_delay_alu instid0(VALU_DEP_2) | instskip(NEXT) | instid1(VALU_DEP_2)
	v_add_f64_e64 v[6:7], v[10:11], -v[6:7]
	v_fma_f64 v[8:9], v[8:9], 2.0, -v[4:5]
	s_delay_alu instid0(VALU_DEP_2) | instskip(SKIP_3) | instid1(VALU_DEP_2)
	v_fma_f64 v[10:11], v[10:11], 2.0, -v[6:7]
	ds_store_b128 v254, v[8:11] offset:2944
	v_add_f64_e32 v[8:9], v[12:13], v[18:19]
	v_add_f64_e64 v[10:11], v[14:15], -v[16:17]
	v_fma_f64 v[12:13], v[12:13], 2.0, -v[8:9]
	s_delay_alu instid0(VALU_DEP_2) | instskip(SKIP_3) | instid1(VALU_DEP_2)
	v_fma_f64 v[14:15], v[14:15], 2.0, -v[10:11]
	ds_store_b128 v254, v[12:15] offset:3328
	v_add_f64_e32 v[12:13], v[20:21], v[26:27]
	v_add_f64_e64 v[14:15], v[22:23], -v[24:25]
	v_fma_f64 v[16:17], v[20:21], 2.0, -v[12:13]
	s_delay_alu instid0(VALU_DEP_2)
	v_fma_f64 v[18:19], v[22:23], 2.0, -v[14:15]
	ds_store_b128 v254, v[16:19] offset:3584
	ds_store_b128 v254, v[0:3] offset:3968
	;; [unrolled: 1-line block ×5, first 2 shown]
	global_wb scope:SCOPE_SE
	s_wait_dscnt 0x0
	s_barrier_signal -1
	s_barrier_wait -1
	global_inv scope:SCOPE_SE
	ds_load_b128 v[0:3], v254 offset:2560
	ds_load_b128 v[16:19], v254 offset:512
	;; [unrolled: 1-line block ×9, first 2 shown]
	s_wait_dscnt 0x8
	v_mul_f64_e32 v[4:5], v[87:88], v[2:3]
	s_delay_alu instid0(VALU_DEP_1) | instskip(SKIP_1) | instid1(VALU_DEP_1)
	v_fma_f64 v[4:5], v[85:86], v[0:1], v[4:5]
	v_mul_f64_e32 v[0:1], v[87:88], v[0:1]
	v_fma_f64 v[6:7], v[85:86], v[2:3], -v[0:1]
	ds_load_b128 v[0:3], v254 offset:2816
	s_wait_dscnt 0x0
	v_mul_f64_e32 v[8:9], v[91:92], v[2:3]
	s_delay_alu instid0(VALU_DEP_1) | instskip(SKIP_1) | instid1(VALU_DEP_1)
	v_fma_f64 v[12:13], v[89:90], v[0:1], v[8:9]
	v_mul_f64_e32 v[0:1], v[91:92], v[0:1]
	v_fma_f64 v[14:15], v[89:90], v[2:3], -v[0:1]
	ds_load_b128 v[0:3], v254 offset:3072
	s_wait_dscnt 0x0
	v_mul_f64_e32 v[8:9], v[95:96], v[2:3]
	s_delay_alu instid0(VALU_DEP_1) | instskip(SKIP_1) | instid1(VALU_DEP_2)
	v_fma_f64 v[20:21], v[93:94], v[0:1], v[8:9]
	v_mul_f64_e32 v[0:1], v[95:96], v[0:1]
	v_add_f64_e64 v[20:21], v[16:17], -v[20:21]
	s_delay_alu instid0(VALU_DEP_2)
	v_fma_f64 v[22:23], v[93:94], v[2:3], -v[0:1]
	ds_load_b128 v[0:3], v254 offset:3328
	s_wait_dscnt 0x0
	v_mul_f64_e32 v[8:9], v[99:100], v[2:3]
	v_fma_f64 v[16:17], v[16:17], 2.0, -v[20:21]
	v_add_f64_e64 v[22:23], v[18:19], -v[22:23]
	s_delay_alu instid0(VALU_DEP_3) | instskip(SKIP_1) | instid1(VALU_DEP_3)
	v_fma_f64 v[28:29], v[97:98], v[0:1], v[8:9]
	v_mul_f64_e32 v[0:1], v[99:100], v[0:1]
	v_fma_f64 v[18:19], v[18:19], 2.0, -v[22:23]
	s_delay_alu instid0(VALU_DEP_3) | instskip(NEXT) | instid1(VALU_DEP_3)
	v_add_f64_e64 v[28:29], v[24:25], -v[28:29]
	v_fma_f64 v[30:31], v[97:98], v[2:3], -v[0:1]
	ds_load_b128 v[0:3], v254 offset:3584
	s_wait_dscnt 0x0
	v_mul_f64_e32 v[8:9], v[103:104], v[2:3]
	v_fma_f64 v[24:25], v[24:25], 2.0, -v[28:29]
	v_add_f64_e64 v[30:31], v[26:27], -v[30:31]
	s_delay_alu instid0(VALU_DEP_3) | instskip(SKIP_1) | instid1(VALU_DEP_3)
	v_fma_f64 v[36:37], v[101:102], v[0:1], v[8:9]
	v_mul_f64_e32 v[0:1], v[103:104], v[0:1]
	v_fma_f64 v[26:27], v[26:27], 2.0, -v[30:31]
	s_delay_alu instid0(VALU_DEP_3) | instskip(NEXT) | instid1(VALU_DEP_3)
	v_add_f64_e64 v[36:37], v[32:33], -v[36:37]
	;; [unrolled: 12-line block ×6, first 2 shown]
	v_fma_f64 v[70:71], v[117:118], v[2:3], -v[0:1]
	ds_load_b128 v[0:3], v254 offset:4864
	s_wait_dscnt 0x0
	v_mul_f64_e32 v[8:9], v[127:128], v[2:3]
	v_fma_f64 v[64:65], v[64:65], 2.0, -v[68:69]
	v_add_f64_e64 v[70:71], v[66:67], -v[70:71]
	s_delay_alu instid0(VALU_DEP_3)
	v_fma_f64 v[76:77], v[125:126], v[0:1], v[8:9]
	v_mul_f64_e32 v[0:1], v[127:128], v[0:1]
	ds_load_b128 v[8:11], v254 offset:256
	v_fma_f64 v[66:67], v[66:67], 2.0, -v[70:71]
	s_wait_dscnt 0x0
	v_add_f64_e64 v[12:13], v[8:9], -v[12:13]
	v_add_f64_e64 v[14:15], v[10:11], -v[14:15]
	;; [unrolled: 1-line block ×3, first 2 shown]
	v_fma_f64 v[78:79], v[125:126], v[2:3], -v[0:1]
	ds_load_b128 v[0:3], v254
	s_wait_dscnt 0x0
	v_add_f64_e64 v[4:5], v[0:1], -v[4:5]
	v_add_f64_e64 v[6:7], v[2:3], -v[6:7]
	v_fma_f64 v[8:9], v[8:9], 2.0, -v[12:13]
	v_fma_f64 v[10:11], v[10:11], 2.0, -v[14:15]
	;; [unrolled: 1-line block ×3, first 2 shown]
	v_add_f64_e64 v[78:79], v[74:75], -v[78:79]
	v_fma_f64 v[0:1], v[0:1], 2.0, -v[4:5]
	v_fma_f64 v[2:3], v[2:3], 2.0, -v[6:7]
	s_delay_alu instid0(VALU_DEP_3)
	v_fma_f64 v[74:75], v[74:75], 2.0, -v[78:79]
	ds_store_b128 v254, v[12:15] offset:2816
	ds_store_b128 v254, v[4:7] offset:2560
	ds_store_b128 v254, v[0:3]
	ds_store_b128 v254, v[8:11] offset:256
	ds_store_b128 v254, v[16:19] offset:512
	;; [unrolled: 1-line block ×17, first 2 shown]
	global_wb scope:SCOPE_SE
	s_wait_dscnt 0x0
	s_barrier_signal -1
	s_barrier_wait -1
	global_inv scope:SCOPE_SE
	s_clause 0x7
	scratch_load_b128 v[6:9], off, off offset:304 th:TH_LOAD_LU
	scratch_load_b128 v[82:85], off, off offset:288 th:TH_LOAD_LU
	;; [unrolled: 1-line block ×8, first 2 shown]
	ds_load_b128 v[0:3], v254
	s_clause 0xb
	scratch_load_b128 v[22:25], off, off th:TH_LOAD_LU
	scratch_load_b128 v[26:29], off, off offset:16 th:TH_LOAD_LU
	scratch_load_b128 v[30:33], off, off offset:32 th:TH_LOAD_LU
	;; [unrolled: 1-line block ×11, first 2 shown]
	s_wait_loadcnt_dscnt 0x1300
	v_mul_f64_e32 v[4:5], v[8:9], v[2:3]
	s_delay_alu instid0(VALU_DEP_1) | instskip(SKIP_1) | instid1(VALU_DEP_1)
	v_fma_f64 v[4:5], v[6:7], v[0:1], v[4:5]
	v_mul_f64_e32 v[0:1], v[8:9], v[0:1]
	v_fma_f64 v[6:7], v[6:7], v[2:3], -v[0:1]
	ds_load_b128 v[0:3], v254 offset:512
	s_wait_loadcnt_dscnt 0x1100
	v_mul_f64_e32 v[8:9], v[12:13], v[2:3]
	s_delay_alu instid0(VALU_DEP_1) | instskip(SKIP_1) | instid1(VALU_DEP_1)
	v_fma_f64 v[8:9], v[10:11], v[0:1], v[8:9]
	v_mul_f64_e32 v[0:1], v[12:13], v[0:1]
	v_fma_f64 v[10:11], v[10:11], v[2:3], -v[0:1]
	ds_load_b128 v[0:3], v254 offset:1024
	;; [unrolled: 7-line block ×8, first 2 shown]
	s_wait_dscnt 0x0
	v_mul_f64_e32 v[36:37], v[40:41], v[2:3]
	s_delay_alu instid0(VALU_DEP_1) | instskip(SKIP_1) | instid1(VALU_DEP_1)
	v_fma_f64 v[36:37], v[38:39], v[0:1], v[36:37]
	v_mul_f64_e32 v[0:1], v[40:41], v[0:1]
	v_fma_f64 v[38:39], v[38:39], v[2:3], -v[0:1]
	ds_load_b128 v[0:3], v253 offset:4608
	s_wait_loadcnt_dscnt 0x700
	v_mul_f64_e32 v[40:41], v[44:45], v[2:3]
	s_delay_alu instid0(VALU_DEP_1) | instskip(SKIP_1) | instid1(VALU_DEP_1)
	v_fma_f64 v[40:41], v[42:43], v[0:1], v[40:41]
	v_mul_f64_e32 v[0:1], v[44:45], v[0:1]
	v_fma_f64 v[42:43], v[42:43], v[2:3], -v[0:1]
	ds_load_b128 v[0:3], v254 offset:256
	s_wait_loadcnt_dscnt 0x600
	v_mul_f64_e32 v[44:45], v[48:49], v[2:3]
	s_delay_alu instid0(VALU_DEP_1) | instskip(SKIP_1) | instid1(VALU_DEP_1)
	v_fma_f64 v[44:45], v[46:47], v[0:1], v[44:45]
	v_mul_f64_e32 v[0:1], v[48:49], v[0:1]
	v_fma_f64 v[46:47], v[46:47], v[2:3], -v[0:1]
	ds_load_b128 v[0:3], v254 offset:768
	s_wait_dscnt 0x0
	v_mul_f64_e32 v[48:49], v[52:53], v[2:3]
	s_delay_alu instid0(VALU_DEP_1) | instskip(SKIP_1) | instid1(VALU_DEP_1)
	v_fma_f64 v[48:49], v[50:51], v[0:1], v[48:49]
	v_mul_f64_e32 v[0:1], v[52:53], v[0:1]
	v_fma_f64 v[50:51], v[50:51], v[2:3], -v[0:1]
	ds_load_b128 v[0:3], v253 offset:1280
	s_wait_dscnt 0x0
	v_mul_f64_e32 v[52:53], v[56:57], v[2:3]
	s_delay_alu instid0(VALU_DEP_1) | instskip(SKIP_1) | instid1(VALU_DEP_1)
	v_fma_f64 v[52:53], v[54:55], v[0:1], v[52:53]
	v_mul_f64_e32 v[0:1], v[56:57], v[0:1]
	v_fma_f64 v[54:55], v[54:55], v[2:3], -v[0:1]
	ds_load_b128 v[0:3], v253 offset:1792
	s_wait_loadcnt_dscnt 0x500
	v_mul_f64_e32 v[56:57], v[60:61], v[2:3]
	s_delay_alu instid0(VALU_DEP_1) | instskip(SKIP_1) | instid1(VALU_DEP_1)
	v_fma_f64 v[56:57], v[58:59], v[0:1], v[56:57]
	v_mul_f64_e32 v[0:1], v[60:61], v[0:1]
	v_fma_f64 v[58:59], v[58:59], v[2:3], -v[0:1]
	ds_load_b128 v[0:3], v253 offset:2304
	s_wait_loadcnt_dscnt 0x400
	;; [unrolled: 7-line block ×6, first 2 shown]
	v_mul_f64_e32 v[76:77], v[80:81], v[2:3]
	s_delay_alu instid0(VALU_DEP_1) | instskip(SKIP_1) | instid1(VALU_DEP_1)
	v_fma_f64 v[76:77], v[78:79], v[0:1], v[76:77]
	v_mul_f64_e32 v[0:1], v[80:81], v[0:1]
	v_fma_f64 v[78:79], v[78:79], v[2:3], -v[0:1]
	ds_load_b128 v[0:3], v253 offset:4864
	s_wait_dscnt 0x0
	v_mul_f64_e32 v[80:81], v[84:85], v[2:3]
	s_delay_alu instid0(VALU_DEP_1) | instskip(SKIP_1) | instid1(VALU_DEP_1)
	v_fma_f64 v[80:81], v[82:83], v[0:1], v[80:81]
	v_mul_f64_e32 v[0:1], v[84:85], v[0:1]
	v_fma_f64 v[82:83], v[82:83], v[2:3], -v[0:1]
	s_clause 0x2
	scratch_load_b64 v[84:85], off, off offset:328 th:TH_LOAD_LU
	scratch_load_b64 v[0:1], off, off offset:320 th:TH_LOAD_LU
	scratch_load_b32 v2, off, off offset:336 th:TH_LOAD_LU
	s_wait_loadcnt 0x1
	v_mov_b32_e32 v85, v0
	s_wait_loadcnt 0x0
	v_mad_co_u64_u32 v[0:1], null, s4, v2, 0
	s_delay_alu instid0(VALU_DEP_1) | instskip(NEXT) | instid1(VALU_DEP_3)
	v_mad_co_u64_u32 v[1:2], null, s5, v2, v[1:2]
	v_lshlrev_b64_e32 v[2:3], 4, v[84:85]
	s_mulk_i32 s5, 0xef00
	s_delay_alu instid0(VALU_DEP_2) | instskip(NEXT) | instid1(VALU_DEP_2)
	v_lshlrev_b64_e32 v[0:1], 4, v[0:1]
	v_add_co_u32 v2, vcc_lo, s0, v2
	s_wait_alu 0xfffd
	s_delay_alu instid0(VALU_DEP_3) | instskip(SKIP_1) | instid1(VALU_DEP_2)
	v_add_co_ci_u32_e32 v3, vcc_lo, s1, v3, vcc_lo
	s_mov_b32 s0, 0x9999999a
	v_add_co_u32 v84, vcc_lo, v2, v0
	s_mov_b32 s1, 0x3f699999
	s_wait_alu 0xfffd
	v_add_co_ci_u32_e32 v85, vcc_lo, v3, v1, vcc_lo
	s_wait_alu 0xfffe
	v_mul_f64_e32 v[0:1], s[0:1], v[4:5]
	v_mul_f64_e32 v[2:3], s[0:1], v[6:7]
	v_add_co_u32 v4, vcc_lo, v84, s2
	s_wait_alu 0xfffd
	v_add_co_ci_u32_e32 v5, vcc_lo, s3, v85, vcc_lo
	v_mul_f64_e32 v[6:7], s[0:1], v[34:35]
	v_mul_f64_e32 v[34:35], s[0:1], v[70:71]
	global_store_b128 v[84:85], v[0:3], off
	v_mul_f64_e32 v[0:1], s[0:1], v[8:9]
	v_mul_f64_e32 v[2:3], s[0:1], v[10:11]
	global_store_b128 v[4:5], v[0:3], off
	v_mul_f64_e32 v[0:1], s[0:1], v[12:13]
	v_mul_f64_e32 v[2:3], s[0:1], v[14:15]
	v_add_co_u32 v4, vcc_lo, v4, s2
	s_wait_alu 0xfffd
	v_add_co_ci_u32_e32 v5, vcc_lo, s3, v5, vcc_lo
	v_mul_f64_e32 v[12:13], s[0:1], v[48:49]
	v_mul_f64_e32 v[14:15], s[0:1], v[50:51]
	global_store_b128 v[4:5], v[0:3], off
	v_mul_f64_e32 v[0:1], s[0:1], v[16:17]
	v_mul_f64_e32 v[2:3], s[0:1], v[18:19]
	v_add_co_u32 v4, vcc_lo, v4, s2
	s_wait_alu 0xfffd
	v_add_co_ci_u32_e32 v5, vcc_lo, s3, v5, vcc_lo
	;; [unrolled: 8-line block ×3, first 2 shown]
	v_mul_f64_e32 v[20:21], s[0:1], v[56:57]
	s_delay_alu instid0(VALU_DEP_3) | instskip(SKIP_1) | instid1(VALU_DEP_3)
	v_add_co_u32 v8, vcc_lo, v4, s2
	s_wait_alu 0xfffd
	v_add_co_ci_u32_e32 v9, vcc_lo, s3, v5, vcc_lo
	v_mul_f64_e32 v[22:23], s[0:1], v[58:59]
	global_store_b128 v[4:5], v[0:3], off
	v_mul_f64_e32 v[0:1], s[0:1], v[24:25]
	v_mul_f64_e32 v[2:3], s[0:1], v[26:27]
	;; [unrolled: 1-line block ×6, first 2 shown]
	global_store_b128 v[8:9], v[0:3], off
	v_mul_f64_e32 v[0:1], s[0:1], v[28:29]
	v_mul_f64_e32 v[2:3], s[0:1], v[30:31]
	v_add_co_u32 v8, vcc_lo, v8, s2
	s_wait_alu 0xfffd
	v_add_co_ci_u32_e32 v9, vcc_lo, s3, v9, vcc_lo
	v_mul_f64_e32 v[28:29], s[0:1], v[64:65]
	s_delay_alu instid0(VALU_DEP_3) | instskip(SKIP_1) | instid1(VALU_DEP_3)
	v_add_co_u32 v10, vcc_lo, v8, s2
	s_wait_alu 0xfffd
	v_add_co_ci_u32_e32 v11, vcc_lo, s3, v9, vcc_lo
	v_mul_f64_e32 v[30:31], s[0:1], v[66:67]
	s_delay_alu instid0(VALU_DEP_3) | instskip(SKIP_1) | instid1(VALU_DEP_3)
	v_add_co_u32 v84, vcc_lo, v10, s2
	s_wait_alu 0xfffd
	v_add_co_ci_u32_e32 v85, vcc_lo, s3, v11, vcc_lo
	s_delay_alu instid0(VALU_DEP_2) | instskip(SKIP_1) | instid1(VALU_DEP_2)
	v_add_co_u32 v86, vcc_lo, v84, s2
	s_wait_alu 0xfffd
	v_add_co_ci_u32_e32 v87, vcc_lo, s3, v85, vcc_lo
	s_delay_alu instid0(VALU_DEP_1) | instskip(SKIP_2) | instid1(VALU_DEP_1)
	v_mad_co_u64_u32 v[88:89], null, 0xffffef00, s4, v[86:87]
	s_sub_co_i32 s4, s5, s4
	s_wait_alu 0xfffe
	v_add_nc_u32_e32 v89, s4, v89
	s_delay_alu instid0(VALU_DEP_2) | instskip(SKIP_1) | instid1(VALU_DEP_2)
	v_add_co_u32 v90, vcc_lo, v88, s2
	s_wait_alu 0xfffd
	v_add_co_ci_u32_e32 v91, vcc_lo, s3, v89, vcc_lo
	global_store_b128 v[8:9], v[0:3], off
	v_mul_f64_e32 v[0:1], s[0:1], v[36:37]
	v_mul_f64_e32 v[2:3], s[0:1], v[38:39]
	global_store_b128 v[10:11], v[4:7], off
	v_mul_f64_e32 v[4:5], s[0:1], v[40:41]
	v_mul_f64_e32 v[6:7], s[0:1], v[42:43]
	;; [unrolled: 1-line block ×4, first 2 shown]
	v_add_co_u32 v92, vcc_lo, v90, s2
	s_wait_alu 0xfffd
	v_add_co_ci_u32_e32 v93, vcc_lo, s3, v91, vcc_lo
	v_mul_f64_e32 v[36:37], s[0:1], v[72:73]
	s_delay_alu instid0(VALU_DEP_3)
	v_add_co_u32 v48, vcc_lo, v92, s2
	v_mul_f64_e32 v[38:39], s[0:1], v[74:75]
	v_mul_f64_e32 v[40:41], s[0:1], v[76:77]
	;; [unrolled: 1-line block ×3, first 2 shown]
	s_wait_alu 0xfffd
	v_add_co_ci_u32_e32 v49, vcc_lo, s3, v93, vcc_lo
	v_mul_f64_e32 v[44:45], s[0:1], v[80:81]
	v_mul_f64_e32 v[46:47], s[0:1], v[82:83]
	global_store_b128 v[84:85], v[0:3], off
	v_add_co_u32 v0, vcc_lo, v48, s2
	s_wait_alu 0xfffd
	v_add_co_ci_u32_e32 v1, vcc_lo, s3, v49, vcc_lo
	global_store_b128 v[86:87], v[4:7], off
	v_add_co_u32 v2, vcc_lo, v0, s2
	s_wait_alu 0xfffd
	v_add_co_ci_u32_e32 v3, vcc_lo, s3, v1, vcc_lo
	s_delay_alu instid0(VALU_DEP_2) | instskip(SKIP_1) | instid1(VALU_DEP_2)
	v_add_co_u32 v50, vcc_lo, v2, s2
	s_wait_alu 0xfffd
	v_add_co_ci_u32_e32 v51, vcc_lo, s3, v3, vcc_lo
	s_delay_alu instid0(VALU_DEP_2) | instskip(SKIP_1) | instid1(VALU_DEP_2)
	v_add_co_u32 v4, vcc_lo, v50, s2
	s_wait_alu 0xfffd
	v_add_co_ci_u32_e32 v5, vcc_lo, s3, v51, vcc_lo
	s_delay_alu instid0(VALU_DEP_2) | instskip(SKIP_1) | instid1(VALU_DEP_2)
	v_add_co_u32 v6, vcc_lo, v4, s2
	s_wait_alu 0xfffd
	v_add_co_ci_u32_e32 v7, vcc_lo, s3, v5, vcc_lo
	s_delay_alu instid0(VALU_DEP_2) | instskip(SKIP_1) | instid1(VALU_DEP_2)
	v_add_co_u32 v52, vcc_lo, v6, s2
	s_wait_alu 0xfffd
	v_add_co_ci_u32_e32 v53, vcc_lo, s3, v7, vcc_lo
	global_store_b128 v[88:89], v[8:11], off
	global_store_b128 v[90:91], v[12:15], off
	;; [unrolled: 1-line block ×10, first 2 shown]
.LBB0_2:
	s_nop 0
	s_sendmsg sendmsg(MSG_DEALLOC_VGPRS)
	s_endpgm
	.section	.rodata,"a",@progbits
	.p2align	6, 0x0
	.amdhsa_kernel bluestein_single_back_len320_dim1_dp_op_CI_CI
		.amdhsa_group_segment_fixed_size 20480
		.amdhsa_private_segment_fixed_size 348
		.amdhsa_kernarg_size 104
		.amdhsa_user_sgpr_count 2
		.amdhsa_user_sgpr_dispatch_ptr 0
		.amdhsa_user_sgpr_queue_ptr 0
		.amdhsa_user_sgpr_kernarg_segment_ptr 1
		.amdhsa_user_sgpr_dispatch_id 0
		.amdhsa_user_sgpr_private_segment_size 0
		.amdhsa_wavefront_size32 1
		.amdhsa_uses_dynamic_stack 0
		.amdhsa_enable_private_segment 1
		.amdhsa_system_sgpr_workgroup_id_x 1
		.amdhsa_system_sgpr_workgroup_id_y 0
		.amdhsa_system_sgpr_workgroup_id_z 0
		.amdhsa_system_sgpr_workgroup_info 0
		.amdhsa_system_vgpr_workitem_id 0
		.amdhsa_next_free_vgpr 256
		.amdhsa_next_free_sgpr 26
		.amdhsa_reserve_vcc 1
		.amdhsa_float_round_mode_32 0
		.amdhsa_float_round_mode_16_64 0
		.amdhsa_float_denorm_mode_32 3
		.amdhsa_float_denorm_mode_16_64 3
		.amdhsa_fp16_overflow 0
		.amdhsa_workgroup_processor_mode 1
		.amdhsa_memory_ordered 1
		.amdhsa_forward_progress 0
		.amdhsa_round_robin_scheduling 0
		.amdhsa_exception_fp_ieee_invalid_op 0
		.amdhsa_exception_fp_denorm_src 0
		.amdhsa_exception_fp_ieee_div_zero 0
		.amdhsa_exception_fp_ieee_overflow 0
		.amdhsa_exception_fp_ieee_underflow 0
		.amdhsa_exception_fp_ieee_inexact 0
		.amdhsa_exception_int_div_zero 0
	.end_amdhsa_kernel
	.text
.Lfunc_end0:
	.size	bluestein_single_back_len320_dim1_dp_op_CI_CI, .Lfunc_end0-bluestein_single_back_len320_dim1_dp_op_CI_CI
                                        ; -- End function
	.section	.AMDGPU.csdata,"",@progbits
; Kernel info:
; codeLenInByte = 20084
; NumSgprs: 28
; NumVgprs: 256
; ScratchSize: 348
; MemoryBound: 0
; FloatMode: 240
; IeeeMode: 1
; LDSByteSize: 20480 bytes/workgroup (compile time only)
; SGPRBlocks: 3
; VGPRBlocks: 31
; NumSGPRsForWavesPerEU: 28
; NumVGPRsForWavesPerEU: 256
; Occupancy: 3
; WaveLimiterHint : 1
; COMPUTE_PGM_RSRC2:SCRATCH_EN: 1
; COMPUTE_PGM_RSRC2:USER_SGPR: 2
; COMPUTE_PGM_RSRC2:TRAP_HANDLER: 0
; COMPUTE_PGM_RSRC2:TGID_X_EN: 1
; COMPUTE_PGM_RSRC2:TGID_Y_EN: 0
; COMPUTE_PGM_RSRC2:TGID_Z_EN: 0
; COMPUTE_PGM_RSRC2:TIDIG_COMP_CNT: 0
	.text
	.p2alignl 7, 3214868480
	.fill 96, 4, 3214868480
	.type	__hip_cuid_74a37e8d362ddb1,@object ; @__hip_cuid_74a37e8d362ddb1
	.section	.bss,"aw",@nobits
	.globl	__hip_cuid_74a37e8d362ddb1
__hip_cuid_74a37e8d362ddb1:
	.byte	0                               ; 0x0
	.size	__hip_cuid_74a37e8d362ddb1, 1

	.ident	"AMD clang version 19.0.0git (https://github.com/RadeonOpenCompute/llvm-project roc-6.4.0 25133 c7fe45cf4b819c5991fe208aaa96edf142730f1d)"
	.section	".note.GNU-stack","",@progbits
	.addrsig
	.addrsig_sym __hip_cuid_74a37e8d362ddb1
	.amdgpu_metadata
---
amdhsa.kernels:
  - .args:
      - .actual_access:  read_only
        .address_space:  global
        .offset:         0
        .size:           8
        .value_kind:     global_buffer
      - .actual_access:  read_only
        .address_space:  global
        .offset:         8
        .size:           8
        .value_kind:     global_buffer
      - .actual_access:  read_only
        .address_space:  global
        .offset:         16
        .size:           8
        .value_kind:     global_buffer
      - .actual_access:  read_only
        .address_space:  global
        .offset:         24
        .size:           8
        .value_kind:     global_buffer
      - .actual_access:  read_only
        .address_space:  global
        .offset:         32
        .size:           8
        .value_kind:     global_buffer
      - .offset:         40
        .size:           8
        .value_kind:     by_value
      - .address_space:  global
        .offset:         48
        .size:           8
        .value_kind:     global_buffer
      - .address_space:  global
        .offset:         56
        .size:           8
        .value_kind:     global_buffer
      - .address_space:  global
        .offset:         64
        .size:           8
        .value_kind:     global_buffer
      - .address_space:  global
        .offset:         72
        .size:           8
        .value_kind:     global_buffer
      - .offset:         80
        .size:           4
        .value_kind:     by_value
      - .address_space:  global
        .offset:         88
        .size:           8
        .value_kind:     global_buffer
      - .address_space:  global
        .offset:         96
        .size:           8
        .value_kind:     global_buffer
    .group_segment_fixed_size: 20480
    .kernarg_segment_align: 8
    .kernarg_segment_size: 104
    .language:       OpenCL C
    .language_version:
      - 2
      - 0
    .max_flat_workgroup_size: 64
    .name:           bluestein_single_back_len320_dim1_dp_op_CI_CI
    .private_segment_fixed_size: 348
    .sgpr_count:     28
    .sgpr_spill_count: 0
    .symbol:         bluestein_single_back_len320_dim1_dp_op_CI_CI.kd
    .uniform_work_group_size: 1
    .uses_dynamic_stack: false
    .vgpr_count:     256
    .vgpr_spill_count: 86
    .wavefront_size: 32
    .workgroup_processor_mode: 1
amdhsa.target:   amdgcn-amd-amdhsa--gfx1201
amdhsa.version:
  - 1
  - 2
...

	.end_amdgpu_metadata
